;; amdgpu-corpus repo=ROCm/rocFFT kind=compiled arch=gfx906 opt=O3
	.text
	.amdgcn_target "amdgcn-amd-amdhsa--gfx906"
	.amdhsa_code_object_version 6
	.protected	bluestein_single_back_len121_dim1_dp_op_CI_CI ; -- Begin function bluestein_single_back_len121_dim1_dp_op_CI_CI
	.globl	bluestein_single_back_len121_dim1_dp_op_CI_CI
	.p2align	8
	.type	bluestein_single_back_len121_dim1_dp_op_CI_CI,@function
bluestein_single_back_len121_dim1_dp_op_CI_CI: ; @bluestein_single_back_len121_dim1_dp_op_CI_CI
; %bb.0:
	v_mul_u32_u24_e32 v1, 0x1746, v0
	s_load_dwordx4 s[12:15], s[4:5], 0x28
	v_lshrrev_b32_e32 v1, 16, v1
	v_mad_u64_u32 v[88:89], s[0:1], s6, 11, v[1:2]
	v_mov_b32_e32 v89, 0
	s_waitcnt lgkmcnt(0)
	v_cmp_gt_u64_e32 vcc, s[12:13], v[88:89]
	s_and_saveexec_b64 s[0:1], vcc
	s_cbranch_execz .LBB0_2
; %bb.1:
	s_load_dwordx4 s[0:3], s[4:5], 0x18
	s_load_dwordx4 s[8:11], s[4:5], 0x0
	v_mul_lo_u16_e32 v1, 11, v1
	v_sub_u16_e32 v101, v0, v1
	v_mov_b32_e32 v7, s15
	s_waitcnt lgkmcnt(0)
	s_load_dwordx4 s[16:19], s[0:1], 0x0
	s_add_u32 s40, s8, 0x790
	s_addc_u32 s41, s9, 0
	v_lshlrev_b32_e32 v93, 4, v101
	s_mov_b32 s20, 0xf8bb580b
	s_waitcnt lgkmcnt(0)
	v_mad_u64_u32 v[0:1], s[0:1], s18, v88, 0
	v_mad_u64_u32 v[2:3], s[0:1], s16, v101, 0
	s_mov_b32 s6, 0x8eee2c13
	s_mov_b32 s12, 0x43842ef
	v_mad_u64_u32 v[4:5], s[0:1], s19, v88, v[1:2]
	s_mov_b32 s22, 0xbb3a28a1
	s_mov_b32 s26, 0xfd768dbf
	v_mad_u64_u32 v[5:6], s[0:1], s17, v101, v[3:4]
	v_mov_b32_e32 v1, v4
	v_lshlrev_b64 v[0:1], 4, v[0:1]
	v_mov_b32_e32 v3, v5
	v_add_co_u32_e32 v4, vcc, s14, v0
	v_addc_co_u32_e32 v5, vcc, v7, v1, vcc
	v_lshlrev_b64 v[0:1], 4, v[2:3]
	s_mul_i32 s0, s17, 0xb0
	v_add_co_u32_e32 v0, vcc, v4, v0
	s_mul_hi_u32 s1, s16, 0xb0
	v_addc_co_u32_e32 v1, vcc, v5, v1, vcc
	s_add_i32 s0, s1, s0
	s_mul_i32 s1, s16, 0xb0
	global_load_dwordx4 v[44:47], v[0:1], off
	v_mov_b32_e32 v2, s0
	v_add_co_u32_e32 v0, vcc, s1, v0
	v_addc_co_u32_e32 v1, vcc, v1, v2, vcc
	global_load_dwordx4 v[40:43], v93, s[8:9]
	global_load_dwordx4 v[24:27], v93, s[8:9] offset:176
	v_mov_b32_e32 v3, s0
	v_add_co_u32_e32 v2, vcc, s1, v0
	v_addc_co_u32_e32 v3, vcc, v1, v3, vcc
	global_load_dwordx4 v[48:51], v[0:1], off
	global_load_dwordx4 v[52:55], v[2:3], off
	global_load_dwordx4 v[32:35], v93, s[8:9] offset:352
	global_load_dwordx4 v[12:15], v93, s[8:9] offset:528
	v_mov_b32_e32 v1, s0
	v_add_co_u32_e32 v0, vcc, s1, v2
	v_addc_co_u32_e32 v1, vcc, v3, v1, vcc
	v_mov_b32_e32 v3, s0
	v_add_co_u32_e32 v2, vcc, s1, v0
	v_addc_co_u32_e32 v3, vcc, v1, v3, vcc
	global_load_dwordx4 v[56:59], v[0:1], off
	global_load_dwordx4 v[60:63], v[2:3], off
	v_mov_b32_e32 v1, s0
	v_add_co_u32_e32 v0, vcc, s1, v2
	v_addc_co_u32_e32 v1, vcc, v3, v1, vcc
	global_load_dwordx4 v[65:68], v[0:1], off
	global_load_dwordx4 v[36:39], v93, s[8:9] offset:704
	global_load_dwordx4 v[8:11], v93, s[8:9] offset:880
	v_mov_b32_e32 v2, s0
	v_add_co_u32_e32 v0, vcc, s1, v0
	v_addc_co_u32_e32 v1, vcc, v1, v2, vcc
	global_load_dwordx4 v[69:72], v[0:1], off
	v_add_co_u32_e32 v0, vcc, s1, v0
	v_addc_co_u32_e32 v1, vcc, v1, v2, vcc
	global_load_dwordx4 v[73:76], v[0:1], off
	global_load_dwordx4 v[28:31], v93, s[8:9] offset:1056
	global_load_dwordx4 v[4:7], v93, s[8:9] offset:1232
	v_add_co_u32_e32 v0, vcc, s1, v0
	v_addc_co_u32_e32 v1, vcc, v1, v2, vcc
	v_add_co_u32_e32 v16, vcc, s1, v0
	v_addc_co_u32_e32 v17, vcc, v1, v2, vcc
	global_load_dwordx4 v[77:80], v[0:1], off
	v_mov_b32_e32 v18, s0
	v_add_co_u32_e32 v85, vcc, s1, v16
	global_load_dwordx4 v[81:84], v[16:17], off
	global_load_dwordx4 v[20:23], v93, s[8:9] offset:1408
	global_load_dwordx4 v[0:3], v93, s[8:9] offset:1584
	v_addc_co_u32_e32 v86, vcc, v17, v18, vcc
	global_load_dwordx4 v[89:92], v[85:86], off
	global_load_dwordx4 v[16:19], v93, s[8:9] offset:1760
	s_mov_b32 s0, 0xba2e8ba3
	v_mul_hi_u32 v64, v88, s0
	s_load_dwordx4 s[0:3], s[2:3], 0x0
	s_mov_b32 s21, 0xbfe14ced
	s_mov_b32 s7, 0xbfed1bb4
	v_lshrrev_b32_e32 v64, 3, v64
	v_mul_lo_u32 v64, v64, 11
	s_mov_b32 s13, 0xbfefac9e
	s_mov_b32 s23, 0xbfe82f19
	;; [unrolled: 1-line block ×3, first 2 shown]
	v_sub_u32_e32 v64, v88, v64
	v_mul_u32_u24_e32 v64, 0x79, v64
	v_lshlrev_b32_e32 v64, 4, v64
	s_mov_b32 s18, 0x8764f0ba
	s_mov_b32 s16, 0xd9c712b6
	;; [unrolled: 1-line block ×14, first 2 shown]
	s_waitcnt vmcnt(20)
	v_mul_f64 v[85:86], v[46:47], v[42:43]
	v_mul_f64 v[94:95], v[44:45], v[42:43]
	s_mov_b32 s37, 0x3fe14ced
	s_mov_b32 s36, s20
	;; [unrolled: 1-line block ×4, first 2 shown]
	s_waitcnt vmcnt(18)
	v_mul_f64 v[96:97], v[50:51], v[26:27]
	v_mul_f64 v[98:99], v[48:49], v[26:27]
	s_waitcnt vmcnt(16)
	v_mul_f64 v[102:103], v[54:55], v[34:35]
	v_mul_f64 v[104:105], v[52:53], v[34:35]
	v_fma_f64 v[44:45], v[44:45], v[40:41], v[85:86]
	v_fma_f64 v[46:47], v[46:47], v[40:41], -v[94:95]
	s_load_dwordx2 s[4:5], s[4:5], 0x38
	v_fma_f64 v[48:49], v[48:49], v[24:25], v[96:97]
	v_fma_f64 v[50:51], v[50:51], v[24:25], -v[98:99]
	v_fma_f64 v[52:53], v[52:53], v[32:33], v[102:103]
	v_fma_f64 v[54:55], v[54:55], v[32:33], -v[104:105]
	v_add_u32_e32 v102, v93, v64
	ds_write_b128 v102, v[44:47]
	ds_write_b128 v102, v[48:51] offset:176
	ds_write_b128 v102, v[52:55] offset:352
	s_waitcnt vmcnt(11)
	v_mul_f64 v[48:49], v[62:63], v[38:39]
	v_mul_f64 v[50:51], v[60:61], v[38:39]
	s_waitcnt vmcnt(10)
	v_mul_f64 v[52:53], v[67:68], v[10:11]
	v_mul_f64 v[54:55], v[65:66], v[10:11]
	;; [unrolled: 1-line block ×4, first 2 shown]
	v_fma_f64 v[48:49], v[60:61], v[36:37], v[48:49]
	v_fma_f64 v[50:51], v[62:63], v[36:37], -v[50:51]
	v_fma_f64 v[52:53], v[65:66], v[8:9], v[52:53]
	s_waitcnt vmcnt(7)
	v_mul_f64 v[85:86], v[71:72], v[30:31]
	v_mul_f64 v[94:95], v[69:70], v[30:31]
	s_waitcnt vmcnt(6)
	v_mul_f64 v[60:61], v[75:76], v[6:7]
	v_mul_f64 v[62:63], v[73:74], v[6:7]
	v_fma_f64 v[54:55], v[67:68], v[8:9], -v[54:55]
	v_fma_f64 v[44:45], v[56:57], v[12:13], v[44:45]
	v_fma_f64 v[46:47], v[58:59], v[12:13], -v[46:47]
	v_fma_f64 v[56:57], v[69:70], v[28:29], v[85:86]
	;; [unrolled: 2-line block ×3, first 2 shown]
	v_fma_f64 v[62:63], v[75:76], v[4:5], -v[62:63]
	s_waitcnt vmcnt(3)
	v_mul_f64 v[65:66], v[79:80], v[22:23]
	v_mul_f64 v[67:68], v[77:78], v[22:23]
	s_waitcnt vmcnt(2)
	v_mul_f64 v[69:70], v[83:84], v[2:3]
	v_mul_f64 v[71:72], v[81:82], v[2:3]
	;; [unrolled: 3-line block ×3, first 2 shown]
	v_fma_f64 v[65:66], v[77:78], v[20:21], v[65:66]
	v_fma_f64 v[67:68], v[79:80], v[20:21], -v[67:68]
	v_fma_f64 v[69:70], v[81:82], v[0:1], v[69:70]
	v_fma_f64 v[71:72], v[83:84], v[0:1], -v[71:72]
	;; [unrolled: 2-line block ×3, first 2 shown]
	ds_write_b128 v102, v[44:47] offset:528
	ds_write_b128 v102, v[48:51] offset:704
	;; [unrolled: 1-line block ×8, first 2 shown]
	s_waitcnt lgkmcnt(0)
	s_barrier
	ds_read_b128 v[48:51], v102
	ds_read_b128 v[52:55], v102 offset:176
	ds_read_b128 v[56:59], v102 offset:352
	;; [unrolled: 1-line block ×9, first 2 shown]
	s_waitcnt lgkmcnt(8)
	v_add_f64 v[44:45], v[48:49], v[52:53]
	v_add_f64 v[46:47], v[50:51], v[54:55]
	ds_read_b128 v[94:97], v102 offset:1760
	s_waitcnt lgkmcnt(0)
	v_add_f64 v[115:116], v[56:57], v[60:61]
	v_add_f64 v[117:118], v[58:59], v[62:63]
	v_add_f64 v[119:120], v[56:57], -v[60:61]
	v_add_f64 v[85:86], v[54:55], -v[96:97]
	v_add_f64 v[44:45], v[44:45], v[56:57]
	v_add_f64 v[46:47], v[46:47], v[58:59]
	;; [unrolled: 1-line block ×3, first 2 shown]
	v_add_f64 v[121:122], v[58:59], -v[62:63]
	v_add_f64 v[56:57], v[69:70], -v[81:82]
	;; [unrolled: 1-line block ×3, first 2 shown]
	v_mul_f64 v[133:134], v[119:120], s[6:7]
	v_mul_f64 v[103:104], v[85:86], s[20:21]
	v_add_f64 v[44:45], v[44:45], v[65:66]
	v_add_f64 v[46:47], v[46:47], v[67:68]
	v_mul_f64 v[107:108], v[85:86], s[12:13]
	v_mul_f64 v[113:114], v[85:86], s[22:23]
	;; [unrolled: 1-line block ×4, first 2 shown]
	s_barrier
	v_fma_f64 v[105:106], v[98:99], s[18:19], -v[103:104]
	v_add_f64 v[44:45], v[44:45], v[69:70]
	v_add_f64 v[46:47], v[46:47], v[71:72]
	v_fma_f64 v[103:104], v[98:99], s[18:19], v[103:104]
	v_fma_f64 v[141:142], v[115:116], s[28:29], -v[137:138]
	v_add_f64 v[44:45], v[44:45], v[73:74]
	v_add_f64 v[46:47], v[46:47], v[75:76]
	v_add_f64 v[103:104], v[48:49], v[103:104]
	v_add_f64 v[44:45], v[44:45], v[77:78]
	v_add_f64 v[46:47], v[46:47], v[79:80]
	v_add_f64 v[44:45], v[44:45], v[81:82]
	v_add_f64 v[46:47], v[46:47], v[83:84]
	v_add_f64 v[44:45], v[44:45], v[89:90]
	v_add_f64 v[46:47], v[46:47], v[91:92]
	v_add_f64 v[44:45], v[44:45], v[60:61]
	v_add_f64 v[46:47], v[46:47], v[62:63]
	v_add_f64 v[62:63], v[65:66], v[89:90]
	v_add_f64 v[60:61], v[67:68], v[91:92]
	v_add_f64 v[65:66], v[65:66], -v[89:90]
	v_add_f64 v[67:68], v[67:68], -v[91:92]
	v_add_f64 v[44:45], v[44:45], v[94:95]
	v_add_f64 v[94:95], v[52:53], -v[94:95]
	v_add_f64 v[46:47], v[46:47], v[96:97]
	v_add_f64 v[96:97], v[54:55], v[96:97]
	v_mul_f64 v[52:53], v[85:86], s[6:7]
	v_add_f64 v[54:55], v[69:70], v[81:82]
	v_add_f64 v[69:70], v[75:76], -v[79:80]
	v_add_f64 v[75:76], v[75:76], v[79:80]
	v_mul_f64 v[79:80], v[85:86], s[26:27]
	v_mul_f64 v[89:90], v[94:95], s[20:21]
	;; [unrolled: 1-line block ×3, first 2 shown]
	v_fma_f64 v[81:82], v[98:99], s[14:15], v[107:108]
	v_fma_f64 v[109:110], v[98:99], s[16:17], -v[52:53]
	v_fma_f64 v[111:112], v[98:99], s[16:17], v[52:53]
	v_add_f64 v[52:53], v[71:72], v[83:84]
	v_add_f64 v[71:72], v[73:74], -v[77:78]
	v_add_f64 v[73:74], v[73:74], v[77:78]
	v_fma_f64 v[77:78], v[98:99], s[14:15], -v[107:108]
	v_fma_f64 v[83:84], v[98:99], s[24:25], -v[113:114]
	v_fma_f64 v[85:86], v[98:99], s[24:25], v[113:114]
	v_fma_f64 v[107:108], v[98:99], s[28:29], -v[79:80]
	v_mul_f64 v[113:114], v[94:95], s[12:13]
	v_fma_f64 v[79:80], v[98:99], s[28:29], v[79:80]
	v_mul_f64 v[98:99], v[94:95], s[22:23]
	v_mul_f64 v[94:95], v[94:95], s[26:27]
	v_fma_f64 v[123:124], v[96:97], s[18:19], v[89:90]
	v_fma_f64 v[125:126], v[96:97], s[16:17], v[91:92]
	v_fma_f64 v[89:90], v[96:97], s[18:19], -v[89:90]
	v_fma_f64 v[91:92], v[96:97], s[16:17], -v[91:92]
	v_fma_f64 v[127:128], v[96:97], s[14:15], v[113:114]
	v_fma_f64 v[113:114], v[96:97], s[14:15], -v[113:114]
	v_fma_f64 v[129:130], v[96:97], s[24:25], v[98:99]
	;; [unrolled: 2-line block ×3, first 2 shown]
	v_fma_f64 v[94:95], v[96:97], s[28:29], -v[94:95]
	v_add_f64 v[96:97], v[48:49], v[105:106]
	v_add_f64 v[105:106], v[50:51], v[123:124]
	;; [unrolled: 1-line block ×3, first 2 shown]
	v_mul_f64 v[125:126], v[121:122], s[6:7]
	v_add_f64 v[89:90], v[50:51], v[89:90]
	v_add_f64 v[109:110], v[48:49], v[109:110]
	;; [unrolled: 1-line block ×7, first 2 shown]
	v_fma_f64 v[135:136], v[115:116], s[16:17], -v[125:126]
	v_add_f64 v[113:114], v[50:51], v[113:114]
	v_add_f64 v[83:84], v[48:49], v[83:84]
	;; [unrolled: 1-line block ×8, first 2 shown]
	v_fma_f64 v[79:80], v[117:118], s[16:17], v[133:134]
	v_add_f64 v[50:51], v[50:51], v[94:95]
	v_add_f64 v[94:95], v[135:136], v[96:97]
	v_mul_f64 v[96:97], v[121:122], s[22:23]
	v_mul_f64 v[135:136], v[119:120], s[22:23]
	v_add_f64 v[77:78], v[141:142], v[77:78]
	v_add_f64 v[79:80], v[79:80], v[105:106]
	v_fma_f64 v[105:106], v[115:116], s[16:17], v[125:126]
	v_fma_f64 v[125:126], v[117:118], s[16:17], -v[133:134]
	v_fma_f64 v[133:134], v[115:116], s[24:25], -v[96:97]
	v_fma_f64 v[139:140], v[117:118], s[24:25], v[135:136]
	v_fma_f64 v[96:97], v[115:116], s[24:25], v[96:97]
	v_fma_f64 v[135:136], v[117:118], s[24:25], -v[135:136]
	v_add_f64 v[103:104], v[105:106], v[103:104]
	v_add_f64 v[89:90], v[125:126], v[89:90]
	;; [unrolled: 1-line block ×5, first 2 shown]
	v_fma_f64 v[111:112], v[117:118], s[28:29], v[143:144]
	v_fma_f64 v[123:124], v[115:116], s[28:29], v[137:138]
	v_fma_f64 v[125:126], v[117:118], s[28:29], -v[143:144]
	v_mul_f64 v[133:134], v[121:122], s[30:31]
	v_mul_f64 v[121:122], v[121:122], s[36:37]
	v_add_f64 v[91:92], v[135:136], v[91:92]
	v_mul_f64 v[135:136], v[119:120], s[30:31]
	v_mul_f64 v[119:120], v[119:120], s[36:37]
	v_add_f64 v[111:112], v[111:112], v[127:128]
	v_add_f64 v[81:82], v[123:124], v[81:82]
	;; [unrolled: 1-line block ×3, first 2 shown]
	v_fma_f64 v[123:124], v[115:116], s[14:15], -v[133:134]
	v_fma_f64 v[125:126], v[115:116], s[14:15], v[133:134]
	v_fma_f64 v[127:128], v[115:116], s[18:19], -v[121:122]
	v_mul_f64 v[137:138], v[67:68], s[12:13]
	v_fma_f64 v[115:116], v[115:116], s[18:19], v[121:122]
	v_mul_f64 v[121:122], v[65:66], s[12:13]
	v_fma_f64 v[133:134], v[117:118], s[14:15], v[135:136]
	v_fma_f64 v[135:136], v[117:118], s[14:15], -v[135:136]
	v_fma_f64 v[139:140], v[117:118], s[18:19], v[119:120]
	v_fma_f64 v[117:118], v[117:118], s[18:19], -v[119:120]
	v_add_f64 v[83:84], v[123:124], v[83:84]
	v_fma_f64 v[123:124], v[62:63], s[14:15], -v[137:138]
	v_add_f64 v[85:86], v[125:126], v[85:86]
	v_fma_f64 v[125:126], v[60:61], s[14:15], v[121:122]
	v_add_f64 v[48:49], v[115:116], v[48:49]
	v_mul_f64 v[115:116], v[67:68], s[38:39]
	v_add_f64 v[119:120], v[133:134], v[129:130]
	v_add_f64 v[107:108], v[127:128], v[107:108]
	;; [unrolled: 1-line block ×6, first 2 shown]
	v_mul_f64 v[117:118], v[65:66], s[38:39]
	v_fma_f64 v[123:124], v[62:63], s[14:15], v[137:138]
	v_fma_f64 v[121:122], v[60:61], s[14:15], -v[121:122]
	v_mul_f64 v[125:126], v[67:68], s[34:35]
	v_fma_f64 v[129:130], v[62:63], s[28:29], -v[115:116]
	v_mul_f64 v[131:132], v[65:66], s[34:35]
	v_fma_f64 v[115:116], v[62:63], s[28:29], v[115:116]
	v_add_f64 v[98:99], v[135:136], v[98:99]
	v_fma_f64 v[133:134], v[60:61], s[28:29], v[117:118]
	v_add_f64 v[103:104], v[123:124], v[103:104]
	v_add_f64 v[89:90], v[121:122], v[89:90]
	v_fma_f64 v[117:118], v[60:61], s[28:29], -v[117:118]
	v_fma_f64 v[121:122], v[62:63], s[16:17], -v[125:126]
	v_add_f64 v[105:106], v[129:130], v[105:106]
	v_fma_f64 v[123:124], v[60:61], s[16:17], v[131:132]
	v_mul_f64 v[129:130], v[67:68], s[20:21]
	v_add_f64 v[96:97], v[115:116], v[96:97]
	v_mul_f64 v[115:116], v[65:66], s[20:21]
	v_mul_f64 v[67:68], v[67:68], s[22:23]
	v_add_f64 v[91:92], v[117:118], v[91:92]
	v_add_f64 v[77:78], v[121:122], v[77:78]
	v_fma_f64 v[117:118], v[62:63], s[16:17], v[125:126]
	v_add_f64 v[111:112], v[123:124], v[111:112]
	v_fma_f64 v[121:122], v[60:61], s[16:17], -v[131:132]
	v_fma_f64 v[123:124], v[62:63], s[18:19], -v[129:130]
	v_mul_f64 v[65:66], v[65:66], s[22:23]
	v_fma_f64 v[125:126], v[60:61], s[18:19], v[115:116]
	v_fma_f64 v[129:130], v[62:63], s[18:19], v[129:130]
	v_fma_f64 v[115:116], v[60:61], s[18:19], -v[115:116]
	v_add_f64 v[81:82], v[117:118], v[81:82]
	v_fma_f64 v[117:118], v[62:63], s[24:25], -v[67:68]
	v_add_f64 v[113:114], v[121:122], v[113:114]
	v_add_f64 v[83:84], v[123:124], v[83:84]
	v_fma_f64 v[121:122], v[60:61], s[24:25], v[65:66]
	v_mul_f64 v[123:124], v[58:59], s[22:23]
	v_fma_f64 v[62:63], v[62:63], s[24:25], v[67:68]
	v_add_f64 v[98:99], v[115:116], v[98:99]
	v_mul_f64 v[115:116], v[56:57], s[22:23]
	v_add_f64 v[67:68], v[117:118], v[107:108]
	v_fma_f64 v[60:61], v[60:61], s[24:25], -v[65:66]
	v_add_f64 v[109:110], v[133:134], v[109:110]
	v_add_f64 v[65:66], v[121:122], v[127:128]
	v_fma_f64 v[117:118], v[54:55], s[24:25], -v[123:124]
	v_mul_f64 v[121:122], v[56:57], s[30:31]
	v_add_f64 v[48:49], v[62:63], v[48:49]
	v_fma_f64 v[62:63], v[54:55], s[24:25], v[123:124]
	v_add_f64 v[119:120], v[125:126], v[119:120]
	v_mul_f64 v[107:108], v[58:59], s[30:31]
	v_fma_f64 v[125:126], v[52:53], s[24:25], v[115:116]
	v_add_f64 v[60:61], v[60:61], v[50:51]
	v_fma_f64 v[50:51], v[52:53], s[24:25], -v[115:116]
	v_add_f64 v[94:95], v[117:118], v[94:95]
	v_fma_f64 v[117:118], v[52:53], s[14:15], v[121:122]
	v_add_f64 v[62:63], v[62:63], v[103:104]
	v_mul_f64 v[103:104], v[56:57], s[20:21]
	v_fma_f64 v[115:116], v[54:55], s[14:15], -v[107:108]
	v_add_f64 v[79:80], v[125:126], v[79:80]
	v_mul_f64 v[123:124], v[58:59], s[20:21]
	v_add_f64 v[89:90], v[50:51], v[89:90]
	v_fma_f64 v[50:51], v[54:55], s[14:15], v[107:108]
	v_add_f64 v[107:108], v[117:118], v[109:110]
	v_fma_f64 v[109:110], v[52:53], s[14:15], -v[121:122]
	v_mul_f64 v[117:118], v[58:59], s[26:27]
	v_fma_f64 v[121:122], v[52:53], s[18:19], v[103:104]
	v_mul_f64 v[125:126], v[56:57], s[26:27]
	v_add_f64 v[105:106], v[115:116], v[105:106]
	v_fma_f64 v[115:116], v[54:55], s[18:19], -v[123:124]
	v_add_f64 v[96:97], v[50:51], v[96:97]
	v_fma_f64 v[50:51], v[52:53], s[18:19], -v[103:104]
	;; [unrolled: 2-line block ×3, first 2 shown]
	v_add_f64 v[109:110], v[121:122], v[111:112]
	v_fma_f64 v[111:112], v[52:53], s[28:29], v[125:126]
	v_mul_f64 v[58:59], v[58:59], s[34:35]
	v_add_f64 v[85:86], v[129:130], v[85:86]
	v_add_f64 v[77:78], v[115:116], v[77:78]
	v_add_f64 v[113:114], v[50:51], v[113:114]
	v_fma_f64 v[50:51], v[54:55], s[28:29], v[117:118]
	v_fma_f64 v[115:116], v[52:53], s[28:29], -v[125:126]
	v_add_f64 v[83:84], v[103:104], v[83:84]
	v_mul_f64 v[56:57], v[56:57], s[34:35]
	v_add_f64 v[103:104], v[111:112], v[119:120]
	v_mul_f64 v[111:112], v[69:70], s[26:27]
	v_fma_f64 v[117:118], v[54:55], s[16:17], -v[58:59]
	v_mul_f64 v[119:120], v[71:72], s[26:27]
	v_fma_f64 v[123:124], v[54:55], s[18:19], v[123:124]
	v_add_f64 v[85:86], v[50:51], v[85:86]
	v_add_f64 v[98:99], v[115:116], v[98:99]
	v_fma_f64 v[50:51], v[54:55], s[16:17], v[58:59]
	v_fma_f64 v[54:55], v[52:53], s[16:17], v[56:57]
	v_fma_f64 v[56:57], v[52:53], s[16:17], -v[56:57]
	v_fma_f64 v[52:53], v[73:74], s[28:29], -v[111:112]
	v_add_f64 v[115:116], v[117:118], v[67:68]
	v_fma_f64 v[58:59], v[75:76], s[28:29], v[119:120]
	v_mul_f64 v[67:68], v[69:70], s[36:37]
	v_mul_f64 v[117:118], v[71:72], s[36:37]
	v_fma_f64 v[111:112], v[73:74], s[28:29], v[111:112]
	v_add_f64 v[81:82], v[123:124], v[81:82]
	v_add_f64 v[121:122], v[54:55], v[65:66]
	;; [unrolled: 1-line block ×3, first 2 shown]
	v_fma_f64 v[54:55], v[75:76], s[28:29], -v[119:120]
	v_add_f64 v[48:49], v[52:53], v[94:95]
	v_add_f64 v[50:51], v[58:59], v[79:80]
	v_fma_f64 v[58:59], v[73:74], s[18:19], -v[67:68]
	v_fma_f64 v[65:66], v[75:76], s[18:19], v[117:118]
	v_mul_f64 v[79:80], v[69:70], s[22:23]
	v_mul_f64 v[94:95], v[71:72], s[22:23]
	v_add_f64 v[52:53], v[111:112], v[62:63]
	v_fma_f64 v[62:63], v[73:74], s[18:19], v[67:68]
	v_fma_f64 v[67:68], v[75:76], s[18:19], -v[117:118]
	v_add_f64 v[54:55], v[54:55], v[89:90]
	v_add_f64 v[111:112], v[56:57], v[60:61]
	;; [unrolled: 1-line block ×4, first 2 shown]
	v_fma_f64 v[65:66], v[73:74], s[24:25], -v[79:80]
	v_fma_f64 v[89:90], v[75:76], s[24:25], v[94:95]
	v_add_f64 v[60:61], v[62:63], v[96:97]
	v_add_f64 v[62:63], v[67:68], v[91:92]
	v_fma_f64 v[79:80], v[73:74], s[24:25], v[79:80]
	v_fma_f64 v[91:92], v[75:76], s[24:25], -v[94:95]
	v_mul_f64 v[94:95], v[69:70], s[34:35]
	v_mul_f64 v[96:97], v[71:72], s[34:35]
	v_add_f64 v[65:66], v[65:66], v[77:78]
	v_add_f64 v[67:68], v[89:90], v[109:110]
	v_mul_f64 v[77:78], v[69:70], s[12:13]
	v_mul_f64 v[89:90], v[71:72], s[12:13]
	v_add_f64 v[69:70], v[79:80], v[81:82]
	v_add_f64 v[71:72], v[91:92], v[113:114]
	v_fma_f64 v[79:80], v[73:74], s[16:17], -v[94:95]
	v_fma_f64 v[81:82], v[75:76], s[16:17], v[96:97]
	v_fma_f64 v[91:92], v[73:74], s[16:17], v[94:95]
	v_fma_f64 v[94:95], v[75:76], s[16:17], -v[96:97]
	v_fma_f64 v[96:97], v[73:74], s[14:15], -v[77:78]
	v_fma_f64 v[105:106], v[75:76], s[14:15], v[89:90]
	v_fma_f64 v[107:108], v[73:74], s[14:15], v[77:78]
	v_fma_f64 v[109:110], v[75:76], s[14:15], -v[89:90]
	v_add_f64 v[73:74], v[79:80], v[83:84]
	v_add_f64 v[75:76], v[81:82], v[103:104]
	;; [unrolled: 1-line block ×3, first 2 shown]
	v_mul_lo_u16_e32 v85, 11, v101
	v_add_f64 v[81:82], v[96:97], v[115:116]
	v_add_f64 v[83:84], v[105:106], v[121:122]
	;; [unrolled: 1-line block ×5, first 2 shown]
	v_lshl_add_u32 v103, v85, 4, v64
	ds_write_b128 v103, v[44:47]
	ds_write_b128 v103, v[48:51] offset:16
	ds_write_b128 v103, v[56:59] offset:32
	;; [unrolled: 1-line block ×10, first 2 shown]
	v_mul_u32_u24_e32 v44, 10, v101
	v_lshlrev_b32_e32 v84, 4, v44
	s_waitcnt lgkmcnt(0)
	s_barrier
	global_load_dwordx4 v[72:75], v84, s[10:11]
	global_load_dwordx4 v[68:71], v84, s[10:11] offset:16
	global_load_dwordx4 v[48:51], v84, s[10:11] offset:32
	;; [unrolled: 1-line block ×9, first 2 shown]
	ds_read_b128 v[84:87], v102 offset:176
	ds_read_b128 v[94:97], v102
	ds_read_b128 v[89:92], v102 offset:352
	ds_read_b128 v[104:107], v102 offset:528
	s_waitcnt vmcnt(9) lgkmcnt(3)
	v_mul_f64 v[98:99], v[86:87], v[74:75]
	v_mul_f64 v[108:109], v[84:85], v[74:75]
	s_waitcnt vmcnt(8) lgkmcnt(1)
	v_mul_f64 v[110:111], v[91:92], v[70:71]
	v_mul_f64 v[112:113], v[89:90], v[70:71]
	;; [unrolled: 3-line block ×3, first 2 shown]
	v_fma_f64 v[98:99], v[84:85], v[72:73], -v[98:99]
	v_fma_f64 v[108:109], v[86:87], v[72:73], v[108:109]
	v_fma_f64 v[110:111], v[89:90], v[68:69], -v[110:111]
	v_fma_f64 v[112:113], v[91:92], v[68:69], v[112:113]
	ds_read_b128 v[84:87], v102 offset:704
	ds_read_b128 v[89:92], v102 offset:880
	v_fma_f64 v[114:115], v[104:105], v[48:49], -v[114:115]
	v_fma_f64 v[118:119], v[106:107], v[48:49], v[118:119]
	v_add_f64 v[116:117], v[94:95], v[98:99]
	v_add_f64 v[120:121], v[96:97], v[108:109]
	s_waitcnt vmcnt(6) lgkmcnt(1)
	v_mul_f64 v[122:123], v[86:87], v[46:47]
	s_waitcnt vmcnt(5) lgkmcnt(0)
	v_mul_f64 v[124:125], v[91:92], v[66:67]
	v_mul_f64 v[128:129], v[89:90], v[66:67]
	v_add_f64 v[104:105], v[116:117], v[110:111]
	v_mul_f64 v[116:117], v[84:85], v[46:47]
	v_add_f64 v[120:121], v[120:121], v[112:113]
	v_fma_f64 v[122:123], v[84:85], v[44:45], -v[122:123]
	v_fma_f64 v[124:125], v[89:90], v[64:65], -v[124:125]
	v_fma_f64 v[128:129], v[91:92], v[64:65], v[128:129]
	ds_read_b128 v[89:92], v102 offset:1408
	v_add_f64 v[126:127], v[104:105], v[114:115]
	v_fma_f64 v[116:117], v[86:87], v[44:45], v[116:117]
	v_add_f64 v[120:121], v[120:121], v[118:119]
	ds_read_b128 v[104:107], v102 offset:1056
	ds_read_b128 v[84:87], v102 offset:1232
	s_waitcnt vmcnt(4) lgkmcnt(1)
	v_mul_f64 v[130:131], v[106:107], v[62:63]
	v_mul_f64 v[132:133], v[104:105], v[62:63]
	v_add_f64 v[126:127], v[126:127], v[122:123]
	v_add_f64 v[120:121], v[120:121], v[116:117]
	s_waitcnt vmcnt(3) lgkmcnt(0)
	v_mul_f64 v[134:135], v[86:87], v[58:59]
	v_mul_f64 v[136:137], v[84:85], v[58:59]
	v_fma_f64 v[130:131], v[104:105], v[60:61], -v[130:131]
	v_fma_f64 v[132:133], v[106:107], v[60:61], v[132:133]
	v_add_f64 v[126:127], v[126:127], v[124:125]
	v_add_f64 v[120:121], v[120:121], v[128:129]
	ds_read_b128 v[104:107], v102 offset:1584
	s_waitcnt vmcnt(2)
	v_mul_f64 v[138:139], v[91:92], v[54:55]
	v_fma_f64 v[134:135], v[84:85], v[56:57], -v[134:135]
	v_mul_f64 v[140:141], v[89:90], v[54:55]
	v_fma_f64 v[136:137], v[86:87], v[56:57], v[136:137]
	ds_read_b128 v[84:87], v102 offset:1760
	v_add_f64 v[126:127], v[126:127], v[130:131]
	v_add_f64 v[120:121], v[120:121], v[132:133]
	v_fma_f64 v[138:139], v[89:90], v[52:53], -v[138:139]
	s_waitcnt vmcnt(1) lgkmcnt(1)
	v_mul_f64 v[89:90], v[106:107], v[78:79]
	v_fma_f64 v[140:141], v[91:92], v[52:53], v[140:141]
	s_waitcnt vmcnt(0) lgkmcnt(0)
	v_mul_f64 v[142:143], v[84:85], v[82:83]
	v_add_f64 v[186:187], v[116:117], -v[136:137]
	v_add_f64 v[91:92], v[126:127], v[134:135]
	v_mul_f64 v[126:127], v[104:105], v[78:79]
	v_add_f64 v[120:121], v[120:121], v[136:137]
	v_add_f64 v[180:181], v[114:115], -v[138:139]
	v_fma_f64 v[104:105], v[104:105], v[76:77], -v[89:90]
	v_mul_f64 v[89:90], v[86:87], v[82:83]
	v_add_f64 v[178:179], v[118:119], -v[140:141]
	v_add_f64 v[188:189], v[122:123], -v[134:135]
	v_add_f64 v[91:92], v[91:92], v[138:139]
	v_fma_f64 v[106:107], v[106:107], v[76:77], v[126:127]
	v_fma_f64 v[126:127], v[86:87], v[80:81], v[142:143]
	v_add_f64 v[86:87], v[120:121], v[140:141]
	v_add_f64 v[176:177], v[110:111], -v[104:105]
	v_fma_f64 v[89:90], v[84:85], v[80:81], -v[89:90]
	v_add_f64 v[140:141], v[118:119], v[140:141]
	v_add_f64 v[138:139], v[114:115], v[138:139]
	;; [unrolled: 1-line block ×3, first 2 shown]
	v_add_f64 v[174:175], v[112:113], -v[106:107]
	v_add_f64 v[91:92], v[108:109], -v[126:127]
	v_add_f64 v[86:87], v[86:87], v[106:107]
	v_add_f64 v[108:109], v[108:109], v[126:127]
	;; [unrolled: 1-line block ×3, first 2 shown]
	v_mul_f64 v[114:115], v[178:179], s[12:13]
	v_mul_f64 v[118:119], v[180:181], s[12:13]
	v_add_f64 v[84:85], v[84:85], v[89:90]
	v_add_f64 v[89:90], v[98:99], -v[89:90]
	v_mul_f64 v[142:143], v[91:92], s[20:21]
	v_add_f64 v[86:87], v[86:87], v[126:127]
	v_mul_f64 v[144:145], v[91:92], s[6:7]
	v_mul_f64 v[126:127], v[91:92], s[12:13]
	;; [unrolled: 1-line block ×4, first 2 shown]
	v_add_f64 v[136:137], v[116:117], v[136:137]
	v_mul_f64 v[154:155], v[89:90], s[20:21]
	v_fma_f64 v[146:147], v[120:121], s[18:19], -v[142:143]
	v_fma_f64 v[142:143], v[120:121], s[18:19], v[142:143]
	v_fma_f64 v[148:149], v[120:121], s[16:17], -v[144:145]
	v_fma_f64 v[144:145], v[120:121], s[16:17], v[144:145]
	v_fma_f64 v[150:151], v[120:121], s[14:15], -v[126:127]
	v_fma_f64 v[126:127], v[120:121], s[14:15], v[126:127]
	v_fma_f64 v[152:153], v[120:121], s[24:25], -v[98:99]
	v_fma_f64 v[98:99], v[120:121], s[24:25], v[98:99]
	v_mul_f64 v[156:157], v[89:90], s[6:7]
	v_fma_f64 v[158:159], v[120:121], s[28:29], -v[91:92]
	v_mul_f64 v[160:161], v[89:90], s[12:13]
	v_fma_f64 v[120:121], v[120:121], s[28:29], v[91:92]
	v_mul_f64 v[91:92], v[89:90], s[22:23]
	v_mul_f64 v[89:90], v[89:90], s[26:27]
	v_fma_f64 v[162:163], v[108:109], s[18:19], v[154:155]
	v_fma_f64 v[154:155], v[108:109], s[18:19], -v[154:155]
	v_fma_f64 v[164:165], v[108:109], s[16:17], v[156:157]
	v_fma_f64 v[156:157], v[108:109], s[16:17], -v[156:157]
	;; [unrolled: 2-line block ×5, first 2 shown]
	v_add_f64 v[89:90], v[112:113], v[106:107]
	v_add_f64 v[91:92], v[110:111], v[104:105]
	v_mul_f64 v[104:105], v[174:175], s[6:7]
	v_mul_f64 v[106:107], v[176:177], s[6:7]
	v_add_f64 v[146:147], v[94:95], v[146:147]
	v_add_f64 v[162:163], v[96:97], v[162:163]
	;; [unrolled: 1-line block ×6, first 2 shown]
	v_fma_f64 v[110:111], v[91:92], s[16:17], -v[104:105]
	v_fma_f64 v[112:113], v[89:90], s[16:17], v[106:107]
	v_fma_f64 v[104:105], v[91:92], s[16:17], v[104:105]
	v_fma_f64 v[106:107], v[89:90], s[16:17], -v[106:107]
	v_add_f64 v[144:145], v[94:95], v[144:145]
	v_add_f64 v[156:157], v[96:97], v[156:157]
	;; [unrolled: 1-line block ×6, first 2 shown]
	v_fma_f64 v[146:147], v[138:139], s[14:15], -v[114:115]
	v_fma_f64 v[162:163], v[140:141], s[14:15], v[118:119]
	v_add_f64 v[126:127], v[94:95], v[126:127]
	v_add_f64 v[160:161], v[96:97], v[160:161]
	;; [unrolled: 1-line block ×13, first 2 shown]
	v_mul_f64 v[108:109], v[186:187], s[22:23]
	v_mul_f64 v[110:111], v[188:189], s[22:23]
	v_add_f64 v[146:147], v[128:129], -v[132:133]
	v_add_f64 v[162:163], v[124:125], -v[130:131]
	v_add_f64 v[104:105], v[104:105], v[142:143]
	v_add_f64 v[106:107], v[106:107], v[154:155]
	v_fma_f64 v[112:113], v[138:139], s[14:15], v[114:115]
	v_fma_f64 v[114:115], v[140:141], s[14:15], -v[118:119]
	v_fma_f64 v[116:117], v[134:135], s[24:25], -v[108:109]
	v_fma_f64 v[118:119], v[136:137], s[24:25], v[110:111]
	v_add_f64 v[128:129], v[128:129], v[132:133]
	v_add_f64 v[124:125], v[124:125], v[130:131]
	v_mul_f64 v[120:121], v[146:147], s[26:27]
	v_mul_f64 v[122:123], v[162:163], s[26:27]
	v_add_f64 v[104:105], v[112:113], v[104:105]
	v_add_f64 v[106:107], v[114:115], v[106:107]
	v_fma_f64 v[108:109], v[134:135], s[24:25], v[108:109]
	v_fma_f64 v[110:111], v[136:137], s[24:25], -v[110:111]
	v_add_f64 v[94:95], v[116:117], v[94:95]
	v_add_f64 v[96:97], v[118:119], v[96:97]
	v_fma_f64 v[112:113], v[124:125], s[28:29], -v[120:121]
	v_fma_f64 v[114:115], v[128:129], s[28:29], v[122:123]
	v_mul_f64 v[116:117], v[174:175], s[22:23]
	v_mul_f64 v[118:119], v[176:177], s[22:23]
	v_add_f64 v[104:105], v[108:109], v[104:105]
	v_add_f64 v[106:107], v[110:111], v[106:107]
	v_fma_f64 v[108:109], v[124:125], s[28:29], v[120:121]
	v_fma_f64 v[110:111], v[128:129], s[28:29], -v[122:123]
	v_add_f64 v[94:95], v[112:113], v[94:95]
	v_add_f64 v[96:97], v[114:115], v[96:97]
	v_fma_f64 v[112:113], v[91:92], s[24:25], -v[116:117]
	v_fma_f64 v[114:115], v[89:90], s[24:25], v[118:119]
	;; [unrolled: 10-line block ×8, first 2 shown]
	v_mul_f64 v[150:151], v[146:147], s[22:23]
	v_mul_f64 v[154:155], v[162:163], s[22:23]
	v_add_f64 v[120:121], v[126:127], v[120:121]
	v_add_f64 v[122:123], v[148:149], v[122:123]
	v_fma_f64 v[126:127], v[134:135], s[18:19], v[142:143]
	v_fma_f64 v[142:143], v[136:137], s[18:19], -v[144:145]
	v_mul_f64 v[148:149], v[176:177], s[30:31]
	v_add_f64 v[118:119], v[132:133], v[118:119]
	v_add_f64 v[116:117], v[130:131], v[116:117]
	v_fma_f64 v[132:133], v[128:129], s[24:25], v[154:155]
	v_fma_f64 v[130:131], v[124:125], s[24:25], -v[150:151]
	;; [unrolled: 5-line block ×3, first 2 shown]
	v_mul_f64 v[150:151], v[178:179], s[20:21]
	v_add_f64 v[118:119], v[132:133], v[118:119]
	v_fma_f64 v[132:133], v[89:90], s[14:15], v[148:149]
	v_add_f64 v[116:117], v[130:131], v[116:117]
	v_fma_f64 v[130:131], v[91:92], s[14:15], -v[144:145]
	v_mul_f64 v[154:155], v[180:181], s[20:21]
	v_add_f64 v[120:121], v[126:127], v[120:121]
	v_add_f64 v[122:123], v[142:143], v[122:123]
	v_mul_f64 v[126:127], v[174:175], s[36:37]
	v_mul_f64 v[142:143], v[176:177], s[36:37]
	v_add_f64 v[132:133], v[132:133], v[168:169]
	v_mul_f64 v[174:175], v[178:179], s[22:23]
	v_mul_f64 v[176:177], v[180:181], s[22:23]
	v_mul_f64 v[178:179], v[186:187], s[34:35]
	v_mul_f64 v[180:181], v[188:189], s[34:35]
	v_add_f64 v[130:131], v[130:131], v[152:153]
	v_fma_f64 v[166:167], v[91:92], s[18:19], -v[126:127]
	v_fma_f64 v[168:169], v[89:90], s[18:19], v[142:143]
	v_fma_f64 v[152:153], v[138:139], s[18:19], -v[150:151]
	v_fma_f64 v[156:157], v[140:141], s[18:19], v[154:155]
	v_mul_f64 v[160:161], v[186:187], s[26:27]
	v_mul_f64 v[164:165], v[188:189], s[26:27]
	v_fma_f64 v[126:127], v[91:92], s[18:19], v[126:127]
	v_fma_f64 v[142:143], v[89:90], s[18:19], -v[142:143]
	v_add_f64 v[158:159], v[166:167], v[158:159]
	v_add_f64 v[166:167], v[168:169], v[172:173]
	v_fma_f64 v[168:169], v[138:139], s[24:25], -v[174:175]
	v_fma_f64 v[172:173], v[140:141], s[24:25], v[176:177]
	v_fma_f64 v[91:92], v[91:92], s[14:15], v[144:145]
	v_fma_f64 v[89:90], v[89:90], s[14:15], -v[148:149]
	v_add_f64 v[130:131], v[152:153], v[130:131]
	v_add_f64 v[132:133], v[156:157], v[132:133]
	v_fma_f64 v[152:153], v[134:135], s[28:29], -v[160:161]
	v_fma_f64 v[156:157], v[136:137], s[28:29], v[164:165]
	v_add_f64 v[158:159], v[168:169], v[158:159]
	v_add_f64 v[166:167], v[172:173], v[166:167]
	v_fma_f64 v[168:169], v[134:135], s[16:17], -v[178:179]
	v_fma_f64 v[172:173], v[136:137], s[16:17], v[180:181]
	v_add_f64 v[126:127], v[126:127], v[182:183]
	v_add_f64 v[142:143], v[142:143], v[184:185]
	;; [unrolled: 1-line block ×4, first 2 shown]
	v_fma_f64 v[98:99], v[138:139], s[18:19], v[150:151]
	v_add_f64 v[130:131], v[152:153], v[130:131]
	v_add_f64 v[144:145], v[168:169], v[158:159]
	;; [unrolled: 1-line block ×3, first 2 shown]
	v_fma_f64 v[158:159], v[138:139], s[24:25], v[174:175]
	v_fma_f64 v[166:167], v[140:141], s[24:25], -v[176:177]
	v_fma_f64 v[138:139], v[140:141], s[18:19], -v[154:155]
	v_add_f64 v[132:133], v[156:157], v[132:133]
	v_mul_f64 v[152:153], v[146:147], s[34:35]
	v_mul_f64 v[156:157], v[162:163], s[34:35]
	v_mul_f64 v[140:141], v[146:147], s[12:13]
	v_mul_f64 v[146:147], v[162:163], s[12:13]
	v_add_f64 v[126:127], v[158:159], v[126:127]
	v_add_f64 v[142:143], v[166:167], v[142:143]
	v_fma_f64 v[150:151], v[134:135], s[16:17], v[178:179]
	v_fma_f64 v[154:155], v[136:137], s[16:17], -v[180:181]
	v_add_f64 v[91:92], v[98:99], v[91:92]
	v_add_f64 v[89:90], v[138:139], v[89:90]
	v_fma_f64 v[98:99], v[134:135], s[28:29], v[160:161]
	v_fma_f64 v[134:135], v[136:137], s[28:29], -v[164:165]
	v_fma_f64 v[186:187], v[124:125], s[16:17], -v[152:153]
	v_fma_f64 v[188:189], v[128:129], s[16:17], v[156:157]
	v_fma_f64 v[136:137], v[124:125], s[14:15], -v[140:141]
	v_fma_f64 v[138:139], v[128:129], s[14:15], v[146:147]
	v_add_f64 v[150:151], v[150:151], v[126:127]
	v_add_f64 v[142:143], v[154:155], v[142:143]
	v_fma_f64 v[140:141], v[124:125], s[14:15], v[140:141]
	v_fma_f64 v[146:147], v[128:129], s[14:15], -v[146:147]
	v_add_f64 v[98:99], v[98:99], v[91:92]
	v_add_f64 v[134:135], v[134:135], v[89:90]
	v_fma_f64 v[152:153], v[124:125], s[16:17], v[152:153]
	v_fma_f64 v[154:155], v[128:129], s[16:17], -v[156:157]
	v_add_f64 v[89:90], v[186:187], v[130:131]
	v_add_f64 v[91:92], v[188:189], v[132:133]
	;; [unrolled: 1-line block ×8, first 2 shown]
	ds_write_b128 v102, v[84:87]
	ds_write_b128 v102, v[94:97] offset:176
	ds_write_b128 v102, v[108:111] offset:352
	;; [unrolled: 1-line block ×10, first 2 shown]
	s_waitcnt lgkmcnt(0)
	s_barrier
	global_load_dwordx4 v[84:87], v93, s[8:9] offset:1936
	global_load_dwordx4 v[89:92], v93, s[40:41] offset:176
	;; [unrolled: 1-line block ×11, first 2 shown]
	ds_read_b128 v[136:139], v102
	ds_read_b128 v[140:143], v102 offset:176
	ds_read_b128 v[144:147], v102 offset:352
	;; [unrolled: 1-line block ×3, first 2 shown]
	s_mov_b32 s9, 0x3fe82f19
	s_mov_b32 s8, s22
	s_waitcnt vmcnt(10) lgkmcnt(3)
	v_mul_f64 v[98:99], v[138:139], v[86:87]
	v_mul_f64 v[86:87], v[136:137], v[86:87]
	s_waitcnt vmcnt(9) lgkmcnt(2)
	v_mul_f64 v[152:153], v[142:143], v[91:92]
	v_mul_f64 v[91:92], v[140:141], v[91:92]
	;; [unrolled: 3-line block ×3, first 2 shown]
	v_fma_f64 v[96:97], v[136:137], v[84:85], -v[98:99]
	v_fma_f64 v[98:99], v[138:139], v[84:85], v[86:87]
	v_fma_f64 v[84:85], v[140:141], v[89:90], -v[152:153]
	v_fma_f64 v[86:87], v[142:143], v[89:90], v[91:92]
	v_fma_f64 v[89:90], v[144:145], v[94:95], -v[154:155]
	ds_read_b128 v[136:139], v102 offset:704
	ds_read_b128 v[140:143], v102 offset:880
	v_fma_f64 v[91:92], v[146:147], v[94:95], v[156:157]
	ds_read_b128 v[144:147], v102 offset:1056
	ds_read_b128 v[152:155], v102 offset:1232
	s_waitcnt vmcnt(7) lgkmcnt(4)
	v_mul_f64 v[93:94], v[150:151], v[106:107]
	v_mul_f64 v[106:107], v[148:149], v[106:107]
	s_waitcnt vmcnt(6) lgkmcnt(3)
	v_mul_f64 v[156:157], v[138:139], v[110:111]
	v_mul_f64 v[110:111], v[136:137], v[110:111]
	;; [unrolled: 3-line block ×4, first 2 shown]
	v_fma_f64 v[148:149], v[148:149], v[104:105], -v[93:94]
	v_fma_f64 v[150:151], v[150:151], v[104:105], v[106:107]
	v_fma_f64 v[104:105], v[136:137], v[108:109], -v[156:157]
	v_fma_f64 v[106:107], v[138:139], v[108:109], v[110:111]
	;; [unrolled: 2-line block ×4, first 2 shown]
	ds_read_b128 v[116:119], v102 offset:1408
	ds_read_b128 v[136:139], v102 offset:1584
	;; [unrolled: 1-line block ×3, first 2 shown]
	s_waitcnt vmcnt(3) lgkmcnt(3)
	v_mul_f64 v[93:94], v[154:155], v[122:123]
	v_mul_f64 v[122:123], v[152:153], v[122:123]
	s_waitcnt vmcnt(2) lgkmcnt(2)
	v_mul_f64 v[156:157], v[118:119], v[126:127]
	v_mul_f64 v[126:127], v[116:117], v[126:127]
	;; [unrolled: 3-line block ×4, first 2 shown]
	v_fma_f64 v[144:145], v[152:153], v[120:121], -v[93:94]
	v_fma_f64 v[146:147], v[154:155], v[120:121], v[122:123]
	v_fma_f64 v[116:117], v[116:117], v[124:125], -v[156:157]
	v_fma_f64 v[118:119], v[118:119], v[124:125], v[126:127]
	v_fma_f64 v[120:121], v[136:137], v[128:129], -v[158:159]
	v_fma_f64 v[122:123], v[138:139], v[128:129], v[130:131]
	v_fma_f64 v[124:125], v[140:141], v[132:133], -v[160:161]
	v_fma_f64 v[126:127], v[142:143], v[132:133], v[134:135]
	ds_write_b128 v102, v[96:99]
	ds_write_b128 v102, v[84:87] offset:176
	ds_write_b128 v102, v[89:92] offset:352
	;; [unrolled: 1-line block ×10, first 2 shown]
	s_waitcnt lgkmcnt(0)
	s_barrier
	ds_read_b128 v[104:107], v102
	ds_read_b128 v[89:92], v102 offset:176
	ds_read_b128 v[95:98], v102 offset:352
	;; [unrolled: 1-line block ×9, first 2 shown]
	s_waitcnt lgkmcnt(8)
	v_add_f64 v[86:87], v[106:107], v[91:92]
	v_add_f64 v[84:85], v[104:105], v[89:90]
	ds_read_b128 v[136:139], v102 offset:1760
	s_waitcnt lgkmcnt(2)
	v_add_f64 v[99:100], v[108:109], -v[128:129]
	s_waitcnt lgkmcnt(1)
	v_add_f64 v[93:94], v[97:98], v[134:135]
	v_add_f64 v[144:145], v[112:113], -v[124:125]
	v_add_f64 v[146:147], v[114:115], -v[126:127]
	s_waitcnt lgkmcnt(0)
	v_add_f64 v[142:143], v[91:92], v[138:139]
	v_add_f64 v[86:87], v[86:87], v[97:98]
	;; [unrolled: 1-line block ×5, first 2 shown]
	v_add_f64 v[152:153], v[116:117], -v[120:121]
	v_add_f64 v[150:151], v[118:119], v[122:123]
	v_add_f64 v[154:155], v[118:119], -v[122:123]
	v_mul_f64 v[158:159], v[142:143], s[14:15]
	v_add_f64 v[86:87], v[86:87], v[110:111]
	v_add_f64 v[84:85], v[84:85], v[108:109]
	v_mul_f64 v[160:161], v[142:143], s[24:25]
	v_mul_f64 v[170:171], v[93:94], s[16:17]
	s_barrier
	v_add_f64 v[86:87], v[86:87], v[114:115]
	v_add_f64 v[84:85], v[84:85], v[112:113]
	;; [unrolled: 1-line block ×13, first 2 shown]
	v_add_f64 v[138:139], v[91:92], -v[138:139]
	v_add_f64 v[84:85], v[84:85], v[136:137]
	v_add_f64 v[136:137], v[89:90], -v[136:137]
	v_add_f64 v[89:90], v[95:96], v[132:133]
	v_add_f64 v[91:92], v[95:96], -v[132:133]
	v_add_f64 v[95:96], v[97:98], -v[134:135]
	v_add_f64 v[97:98], v[108:109], v[128:129]
	v_add_f64 v[132:133], v[110:111], v[130:131]
	v_add_f64 v[128:129], v[110:111], -v[130:131]
	v_add_f64 v[130:131], v[112:113], v[124:125]
	v_add_f64 v[134:135], v[114:115], v[126:127]
	v_mul_f64 v[108:109], v[138:139], s[20:21]
	v_mul_f64 v[110:111], v[138:139], s[6:7]
	;; [unrolled: 1-line block ×8, first 2 shown]
	v_fma_f64 v[118:119], v[140:141], s[18:19], v[108:109]
	v_fma_f64 v[120:121], v[140:141], s[16:17], v[110:111]
	v_fma_f64 v[110:111], v[140:141], s[16:17], -v[110:111]
	v_fma_f64 v[108:109], v[140:141], s[18:19], -v[108:109]
	v_fma_f64 v[122:123], v[140:141], s[14:15], v[112:113]
	v_fma_f64 v[162:163], v[136:137], s[34:35], v[138:139]
	v_fma_f64 v[112:113], v[140:141], s[14:15], -v[112:113]
	v_fma_f64 v[126:127], v[140:141], s[24:25], v[114:115]
	v_fma_f64 v[114:115], v[140:141], s[24:25], -v[114:115]
	;; [unrolled: 2-line block ×3, first 2 shown]
	v_fma_f64 v[140:141], v[136:137], s[36:37], v[124:125]
	v_fma_f64 v[124:125], v[136:137], s[20:21], v[124:125]
	;; [unrolled: 1-line block ×9, first 2 shown]
	v_add_f64 v[142:143], v[106:107], v[162:163]
	v_add_f64 v[162:163], v[104:105], v[110:111]
	v_mul_f64 v[110:111], v[95:96], s[6:7]
	v_add_f64 v[118:119], v[104:105], v[118:119]
	v_add_f64 v[140:141], v[106:107], v[140:141]
	;; [unrolled: 1-line block ×3, first 2 shown]
	v_fma_f64 v[174:175], v[91:92], s[34:35], v[170:171]
	v_mul_f64 v[176:177], v[128:129], s[12:13]
	v_mul_f64 v[178:179], v[132:133], s[14:15]
	v_add_f64 v[180:181], v[104:105], v[114:115]
	v_fma_f64 v[112:113], v[89:90], s[16:17], v[110:111]
	v_mul_f64 v[182:183], v[134:135], s[24:25]
	v_add_f64 v[108:109], v[104:105], v[108:109]
	v_add_f64 v[124:125], v[106:107], v[124:125]
	;; [unrolled: 1-line block ×3, first 2 shown]
	v_mul_f64 v[174:175], v[146:147], s[22:23]
	v_fma_f64 v[140:141], v[99:100], s[30:31], v[178:179]
	v_add_f64 v[120:121], v[104:105], v[120:121]
	v_add_f64 v[112:113], v[112:113], v[118:119]
	v_fma_f64 v[118:119], v[97:98], s[14:15], v[176:177]
	v_add_f64 v[138:139], v[106:107], v[138:139]
	v_add_f64 v[122:123], v[104:105], v[122:123]
	;; [unrolled: 1-line block ×11, first 2 shown]
	v_fma_f64 v[104:105], v[89:90], s[16:17], -v[110:111]
	v_fma_f64 v[106:107], v[91:92], s[6:7], v[170:171]
	v_add_f64 v[110:111], v[118:119], v[112:113]
	v_add_f64 v[112:113], v[140:141], v[114:115]
	v_fma_f64 v[114:115], v[130:131], s[24:25], v[174:175]
	v_fma_f64 v[116:117], v[144:145], s[8:9], v[182:183]
	v_mul_f64 v[118:119], v[154:155], s[26:27]
	v_mul_f64 v[140:141], v[150:151], s[28:29]
	v_add_f64 v[104:105], v[104:105], v[108:109]
	v_add_f64 v[106:107], v[106:107], v[124:125]
	v_fma_f64 v[108:109], v[97:98], s[14:15], -v[176:177]
	v_fma_f64 v[124:125], v[99:100], s[12:13], v[178:179]
	v_add_f64 v[110:111], v[114:115], v[110:111]
	v_add_f64 v[112:113], v[116:117], v[112:113]
	v_fma_f64 v[114:115], v[148:149], s[28:29], v[118:119]
	v_fma_f64 v[116:117], v[152:153], s[38:39], v[140:141]
	v_mul_f64 v[170:171], v[95:96], s[22:23]
	v_mul_f64 v[176:177], v[93:94], s[24:25]
	v_add_f64 v[108:109], v[108:109], v[104:105]
	v_add_f64 v[124:125], v[124:125], v[106:107]
	;; [unrolled: 10-line block ×8, first 2 shown]
	v_fma_f64 v[124:125], v[89:90], s[28:29], -v[142:143]
	v_fma_f64 v[142:143], v[91:92], s[38:39], v[162:163]
	v_add_f64 v[120:121], v[138:139], v[120:121]
	v_add_f64 v[122:123], v[164:165], v[122:123]
	v_fma_f64 v[138:139], v[130:131], s[18:19], v[174:175]
	v_fma_f64 v[162:163], v[144:145], s[36:37], v[176:177]
	v_fma_f64 v[140:141], v[97:98], s[16:17], -v[140:141]
	v_mul_f64 v[164:165], v[154:155], s[22:23]
	v_add_f64 v[124:125], v[124:125], v[172:173]
	v_add_f64 v[142:143], v[142:143], v[158:159]
	v_fma_f64 v[158:159], v[99:100], s[34:35], v[178:179]
	v_mul_f64 v[170:171], v[150:151], s[24:25]
	v_add_f64 v[120:121], v[138:139], v[120:121]
	v_add_f64 v[122:123], v[162:163], v[122:123]
	v_mul_f64 v[138:139], v[95:96], s[30:31]
	v_mul_f64 v[162:163], v[93:94], s[14:15]
	v_add_f64 v[124:125], v[140:141], v[124:125]
	v_mul_f64 v[182:183], v[128:129], s[20:21]
	v_add_f64 v[140:141], v[158:159], v[142:143]
	v_fma_f64 v[142:143], v[130:131], s[18:19], -v[174:175]
	v_fma_f64 v[158:159], v[144:145], s[20:21], v[176:177]
	v_mul_f64 v[186:187], v[132:133], s[18:19]
	v_fma_f64 v[174:175], v[89:90], s[14:15], v[138:139]
	v_fma_f64 v[176:177], v[91:92], s[12:13], v[162:163]
	v_fma_f64 v[172:173], v[148:149], s[24:25], v[164:165]
	v_fma_f64 v[178:179], v[152:153], s[8:9], v[170:171]
	v_fma_f64 v[170:171], v[152:153], s[22:23], v[170:171]
	v_add_f64 v[124:125], v[142:143], v[124:125]
	v_add_f64 v[140:141], v[158:159], v[140:141]
	v_fma_f64 v[158:159], v[97:98], s[18:19], v[182:183]
	v_add_f64 v[126:127], v[174:175], v[126:127]
	v_add_f64 v[142:143], v[176:177], v[166:167]
	v_fma_f64 v[166:167], v[99:100], s[36:37], v[186:187]
	v_mul_f64 v[174:175], v[134:135], s[28:29]
	v_fma_f64 v[138:139], v[89:90], s[14:15], -v[138:139]
	v_fma_f64 v[162:163], v[91:92], s[30:31], v[162:163]
	v_add_f64 v[120:121], v[172:173], v[120:121]
	v_mul_f64 v[172:173], v[146:147], s[26:27]
	v_add_f64 v[158:159], v[158:159], v[126:127]
	v_add_f64 v[126:127], v[170:171], v[140:141]
	;; [unrolled: 1-line block ×3, first 2 shown]
	v_fma_f64 v[176:177], v[144:145], s[38:39], v[174:175]
	v_add_f64 v[138:139], v[138:139], v[180:181]
	v_add_f64 v[140:141], v[162:163], v[160:161]
	v_fma_f64 v[160:161], v[97:98], s[18:19], -v[182:183]
	v_fma_f64 v[162:163], v[99:100], s[20:21], v[186:187]
	v_mul_f64 v[95:96], v[95:96], s[36:37]
	v_mul_f64 v[93:94], v[93:94], s[18:19]
	;; [unrolled: 1-line block ×3, first 2 shown]
	v_add_f64 v[142:143], v[176:177], v[142:143]
	v_mul_f64 v[132:133], v[132:133], s[24:25]
	v_fma_f64 v[164:165], v[148:149], s[24:25], -v[164:165]
	v_add_f64 v[138:139], v[160:161], v[138:139]
	v_add_f64 v[140:141], v[162:163], v[140:141]
	v_fma_f64 v[160:161], v[130:131], s[28:29], -v[172:173]
	v_fma_f64 v[162:163], v[144:145], s[26:27], v[174:175]
	v_fma_f64 v[174:175], v[89:90], s[18:19], v[95:96]
	;; [unrolled: 1-line block ×3, first 2 shown]
	v_fma_f64 v[89:90], v[89:90], s[18:19], -v[95:96]
	v_fma_f64 v[91:92], v[91:92], s[36:37], v[93:94]
	v_fma_f64 v[166:167], v[130:131], s[28:29], v[172:173]
	v_mul_f64 v[146:147], v[146:147], s[34:35]
	v_add_f64 v[138:139], v[160:161], v[138:139]
	v_fma_f64 v[160:161], v[99:100], s[8:9], v[132:133]
	v_add_f64 v[93:94], v[174:175], v[156:157]
	v_add_f64 v[95:96], v[176:177], v[168:169]
	v_fma_f64 v[156:157], v[97:98], s[24:25], v[128:129]
	v_mul_f64 v[134:135], v[134:135], s[16:17]
	v_add_f64 v[89:90], v[89:90], v[184:185]
	v_add_f64 v[91:92], v[91:92], v[136:137]
	v_fma_f64 v[97:98], v[97:98], s[24:25], -v[128:129]
	v_fma_f64 v[99:100], v[99:100], s[22:23], v[132:133]
	v_add_f64 v[124:125], v[164:165], v[124:125]
	v_add_f64 v[158:159], v[166:167], v[158:159]
	v_mul_f64 v[164:165], v[154:155], s[34:35]
	v_mul_f64 v[166:167], v[150:151], s[16:17]
	v_add_f64 v[93:94], v[156:157], v[93:94]
	v_add_f64 v[95:96], v[160:161], v[95:96]
	v_fma_f64 v[128:129], v[130:131], s[16:17], v[146:147]
	v_fma_f64 v[132:133], v[144:145], s[6:7], v[134:135]
	v_mul_f64 v[136:137], v[154:155], s[12:13]
	v_mul_f64 v[150:151], v[150:151], s[14:15]
	v_add_f64 v[89:90], v[97:98], v[89:90]
	v_add_f64 v[91:92], v[99:100], v[91:92]
	v_fma_f64 v[97:98], v[130:131], s[16:17], -v[146:147]
	v_fma_f64 v[99:100], v[144:145], s[34:35], v[134:135]
	v_fma_f64 v[170:171], v[148:149], s[16:17], v[164:165]
	;; [unrolled: 1-line block ×3, first 2 shown]
	v_add_f64 v[128:129], v[128:129], v[93:94]
	v_add_f64 v[132:133], v[132:133], v[95:96]
	v_fma_f64 v[144:145], v[148:149], s[14:15], v[136:137]
	v_fma_f64 v[146:147], v[152:153], s[30:31], v[150:151]
	v_fma_f64 v[130:131], v[148:149], s[16:17], -v[164:165]
	v_add_f64 v[154:155], v[97:98], v[89:90]
	v_add_f64 v[156:157], v[99:100], v[91:92]
	v_fma_f64 v[136:137], v[148:149], s[14:15], -v[136:137]
	v_fma_f64 v[148:149], v[152:153], s[12:13], v[150:151]
	v_add_f64 v[140:141], v[162:163], v[140:141]
	v_fma_f64 v[134:135], v[152:153], s[34:35], v[166:167]
	v_add_f64 v[122:123], v[178:179], v[122:123]
	v_add_f64 v[89:90], v[170:171], v[158:159]
	;; [unrolled: 1-line block ×9, first 2 shown]
	ds_write_b128 v103, v[84:87]
	ds_write_b128 v103, v[104:107] offset:16
	ds_write_b128 v103, v[112:115] offset:32
	;; [unrolled: 1-line block ×10, first 2 shown]
	s_waitcnt lgkmcnt(0)
	s_barrier
	ds_read_b128 v[84:87], v102 offset:176
	ds_read_b128 v[89:92], v102
	ds_read_b128 v[93:96], v102 offset:352
	ds_read_b128 v[97:100], v102 offset:528
	s_waitcnt lgkmcnt(3)
	v_mul_f64 v[103:104], v[74:75], v[86:87]
	v_mul_f64 v[74:75], v[74:75], v[84:85]
	s_waitcnt lgkmcnt(1)
	v_mul_f64 v[105:106], v[70:71], v[95:96]
	v_mul_f64 v[70:71], v[70:71], v[93:94]
	v_fma_f64 v[103:104], v[72:73], v[84:85], v[103:104]
	v_fma_f64 v[107:108], v[72:73], v[86:87], -v[74:75]
	v_fma_f64 v[93:94], v[68:69], v[93:94], v[105:106]
	v_fma_f64 v[95:96], v[68:69], v[95:96], -v[70:71]
	ds_read_b128 v[68:71], v102 offset:704
	s_waitcnt lgkmcnt(1)
	v_mul_f64 v[84:85], v[50:51], v[99:100]
	v_mul_f64 v[50:51], v[50:51], v[97:98]
	ds_read_b128 v[72:75], v102 offset:880
	v_add_f64 v[86:87], v[89:90], v[103:104]
	v_add_f64 v[105:106], v[91:92], v[107:108]
	s_waitcnt lgkmcnt(1)
	v_mul_f64 v[109:110], v[46:47], v[70:71]
	v_mul_f64 v[46:47], v[46:47], v[68:69]
	v_fma_f64 v[97:98], v[48:49], v[97:98], v[84:85]
	v_fma_f64 v[99:100], v[48:49], v[99:100], -v[50:51]
	v_add_f64 v[84:85], v[86:87], v[93:94]
	v_add_f64 v[48:49], v[105:106], v[95:96]
	v_fma_f64 v[105:106], v[44:45], v[68:69], v[109:110]
	v_fma_f64 v[109:110], v[44:45], v[70:71], -v[46:47]
	ds_read_b128 v[44:47], v102 offset:1056
	s_waitcnt lgkmcnt(1)
	v_mul_f64 v[50:51], v[66:67], v[74:75]
	v_add_f64 v[70:71], v[84:85], v[97:98]
	v_mul_f64 v[84:85], v[66:67], v[72:73]
	v_add_f64 v[86:87], v[48:49], v[99:100]
	s_waitcnt lgkmcnt(0)
	v_mul_f64 v[111:112], v[62:63], v[46:47]
	v_mul_f64 v[113:114], v[62:63], v[44:45]
	v_fma_f64 v[48:49], v[64:65], v[72:73], v[50:51]
	ds_read_b128 v[66:69], v102 offset:1232
	v_add_f64 v[115:116], v[70:71], v[105:106]
	ds_read_b128 v[70:73], v102 offset:1408
	v_fma_f64 v[62:63], v[64:65], v[74:75], -v[84:85]
	v_add_f64 v[64:65], v[86:87], v[109:110]
	v_fma_f64 v[50:51], v[60:61], v[44:45], v[111:112]
	s_waitcnt lgkmcnt(1)
	v_mul_f64 v[74:75], v[58:59], v[68:69]
	v_mul_f64 v[111:112], v[58:59], v[66:67]
	v_fma_f64 v[58:59], v[60:61], v[46:47], -v[113:114]
	v_add_f64 v[115:116], v[115:116], v[48:49]
	ds_read_b128 v[44:47], v102 offset:1584
	ds_read_b128 v[84:87], v102 offset:1760
	v_add_f64 v[60:61], v[64:65], v[62:63]
	s_waitcnt lgkmcnt(2)
	v_mul_f64 v[64:65], v[54:55], v[72:73]
	v_mul_f64 v[54:55], v[54:55], v[70:71]
	v_fma_f64 v[66:67], v[56:57], v[66:67], v[74:75]
	v_fma_f64 v[56:57], v[56:57], v[68:69], -v[111:112]
	v_add_f64 v[74:75], v[115:116], v[50:51]
	s_waitcnt lgkmcnt(0)
	v_mul_f64 v[68:69], v[82:83], v[84:85]
	v_add_f64 v[60:61], v[60:61], v[58:59]
	v_fma_f64 v[64:65], v[52:53], v[70:71], v[64:65]
	v_fma_f64 v[52:53], v[52:53], v[72:73], -v[54:55]
	v_mul_f64 v[54:55], v[78:79], v[46:47]
	v_mul_f64 v[72:73], v[78:79], v[44:45]
	v_add_f64 v[70:71], v[74:75], v[66:67]
	v_mul_f64 v[74:75], v[82:83], v[86:87]
	v_fma_f64 v[68:69], v[80:81], v[86:87], -v[68:69]
	v_add_f64 v[60:61], v[60:61], v[56:57]
	v_fma_f64 v[54:55], v[76:77], v[44:45], v[54:55]
	v_add_f64 v[44:45], v[70:71], v[64:65]
	v_fma_f64 v[70:71], v[76:77], v[46:47], -v[72:73]
	v_add_f64 v[72:73], v[107:108], -v[68:69]
	v_add_f64 v[46:47], v[60:61], v[52:53]
	v_fma_f64 v[60:61], v[80:81], v[84:85], v[74:75]
	v_add_f64 v[74:75], v[107:108], v[68:69]
	v_add_f64 v[44:45], v[44:45], v[54:55]
	v_mul_f64 v[78:79], v[72:73], s[20:21]
	v_add_f64 v[46:47], v[46:47], v[70:71]
	v_add_f64 v[76:77], v[103:104], v[60:61]
	v_add_f64 v[80:81], v[103:104], -v[60:61]
	v_mul_f64 v[82:83], v[74:75], s[18:19]
	v_mul_f64 v[84:85], v[72:73], s[6:7]
	v_add_f64 v[44:45], v[44:45], v[60:61]
	v_mul_f64 v[60:61], v[72:73], s[12:13]
	v_mul_f64 v[113:114], v[74:75], s[16:17]
	v_add_f64 v[46:47], v[46:47], v[68:69]
	v_mul_f64 v[68:69], v[72:73], s[22:23]
	v_mul_f64 v[72:73], v[72:73], s[26:27]
	;; [unrolled: 1-line block ×3, first 2 shown]
	v_fma_f64 v[86:87], v[76:77], s[18:19], v[78:79]
	v_fma_f64 v[78:79], v[76:77], s[18:19], -v[78:79]
	v_fma_f64 v[103:104], v[76:77], s[16:17], v[84:85]
	v_fma_f64 v[84:85], v[76:77], s[16:17], -v[84:85]
	;; [unrolled: 2-line block ×5, first 2 shown]
	v_mul_f64 v[76:77], v[74:75], s[24:25]
	v_mul_f64 v[74:75], v[74:75], s[28:29]
	v_fma_f64 v[119:120], v[80:81], s[36:37], v[82:83]
	v_fma_f64 v[121:122], v[80:81], s[34:35], v[113:114]
	;; [unrolled: 1-line block ×10, first 2 shown]
	v_add_f64 v[80:81], v[89:90], v[86:87]
	v_add_f64 v[86:87], v[91:92], v[119:120]
	;; [unrolled: 1-line block ×4, first 2 shown]
	v_add_f64 v[123:124], v[95:96], -v[70:71]
	v_add_f64 v[70:71], v[95:96], v[70:71]
	v_add_f64 v[95:96], v[91:92], v[117:118]
	;; [unrolled: 1-line block ×4, first 2 shown]
	v_add_f64 v[54:55], v[93:94], -v[54:55]
	v_add_f64 v[78:79], v[89:90], v[78:79]
	v_add_f64 v[82:83], v[91:92], v[82:83]
	v_mul_f64 v[93:94], v[123:124], s[6:7]
	v_mul_f64 v[129:130], v[70:71], s[16:17]
	;; [unrolled: 1-line block ×4, first 2 shown]
	v_add_f64 v[103:104], v[89:90], v[103:104]
	v_add_f64 v[84:85], v[89:90], v[84:85]
	;; [unrolled: 1-line block ×4, first 2 shown]
	v_fma_f64 v[135:136], v[125:126], s[16:17], v[93:94]
	v_add_f64 v[60:61], v[89:90], v[60:61]
	v_add_f64 v[111:112], v[89:90], v[111:112]
	;; [unrolled: 1-line block ×6, first 2 shown]
	v_fma_f64 v[137:138], v[54:55], s[34:35], v[129:130]
	v_add_f64 v[72:73], v[89:90], v[72:73]
	v_add_f64 v[74:75], v[91:92], v[74:75]
	v_fma_f64 v[89:90], v[125:126], s[16:17], -v[93:94]
	v_fma_f64 v[91:92], v[54:55], s[6:7], v[129:130]
	v_fma_f64 v[93:94], v[125:126], s[24:25], v[131:132]
	v_fma_f64 v[129:130], v[54:55], s[8:9], v[133:134]
	v_add_f64 v[80:81], v[135:136], v[80:81]
	v_mul_f64 v[135:136], v[123:124], s[38:39]
	v_add_f64 v[86:87], v[137:138], v[86:87]
	v_mul_f64 v[137:138], v[70:71], s[28:29]
	v_add_f64 v[78:79], v[89:90], v[78:79]
	v_add_f64 v[82:83], v[91:92], v[82:83]
	;; [unrolled: 1-line block ×4, first 2 shown]
	v_fma_f64 v[93:94], v[125:126], s[24:25], -v[131:132]
	v_fma_f64 v[103:104], v[54:55], s[22:23], v[133:134]
	v_fma_f64 v[119:120], v[125:126], s[28:29], v[135:136]
	v_mul_f64 v[131:132], v[123:124], s[30:31]
	v_mul_f64 v[133:134], v[70:71], s[14:15]
	v_fma_f64 v[129:130], v[54:55], s[26:27], v[137:138]
	v_mul_f64 v[123:124], v[123:124], s[36:37]
	v_mul_f64 v[70:71], v[70:71], s[18:19]
	v_add_f64 v[84:85], v[93:94], v[84:85]
	v_add_f64 v[93:94], v[103:104], v[113:114]
	;; [unrolled: 1-line block ×3, first 2 shown]
	v_fma_f64 v[113:114], v[125:126], s[14:15], v[131:132]
	v_fma_f64 v[119:120], v[54:55], s[12:13], v[133:134]
	v_add_f64 v[107:108], v[129:130], v[121:122]
	v_fma_f64 v[121:122], v[125:126], s[14:15], -v[131:132]
	v_fma_f64 v[129:130], v[54:55], s[30:31], v[133:134]
	v_fma_f64 v[135:136], v[125:126], s[28:29], -v[135:136]
	v_fma_f64 v[137:138], v[54:55], s[38:39], v[137:138]
	v_add_f64 v[111:112], v[113:114], v[111:112]
	v_add_f64 v[113:114], v[119:120], v[117:118]
	v_add_f64 v[117:118], v[99:100], -v[52:53]
	v_add_f64 v[52:53], v[99:100], v[52:53]
	v_add_f64 v[68:69], v[121:122], v[68:69]
	v_fma_f64 v[99:100], v[125:126], s[18:19], v[123:124]
	v_fma_f64 v[119:120], v[54:55], s[20:21], v[70:71]
	v_add_f64 v[121:122], v[97:98], v[64:65]
	v_add_f64 v[64:65], v[97:98], -v[64:65]
	v_add_f64 v[76:77], v[129:130], v[76:77]
	v_mul_f64 v[97:98], v[117:118], s[12:13]
	v_mul_f64 v[129:130], v[52:53], s[14:15]
	v_fma_f64 v[123:124], v[125:126], s[18:19], -v[123:124]
	v_add_f64 v[99:100], v[99:100], v[115:116]
	v_fma_f64 v[54:55], v[54:55], s[36:37], v[70:71]
	v_add_f64 v[70:71], v[119:120], v[127:128]
	v_mul_f64 v[115:116], v[117:118], s[38:39]
	v_mul_f64 v[119:120], v[52:53], s[28:29]
	v_fma_f64 v[125:126], v[121:122], s[14:15], v[97:98]
	v_fma_f64 v[127:128], v[64:65], s[30:31], v[129:130]
	v_add_f64 v[72:73], v[123:124], v[72:73]
	v_fma_f64 v[97:98], v[121:122], s[14:15], -v[97:98]
	v_add_f64 v[54:55], v[54:55], v[74:75]
	v_fma_f64 v[74:75], v[64:65], s[12:13], v[129:130]
	v_fma_f64 v[123:124], v[121:122], s[28:29], v[115:116]
	;; [unrolled: 1-line block ×3, first 2 shown]
	v_add_f64 v[80:81], v[125:126], v[80:81]
	v_mul_f64 v[125:126], v[117:118], s[34:35]
	v_add_f64 v[95:96], v[137:138], v[95:96]
	v_add_f64 v[78:79], v[97:98], v[78:79]
	v_mul_f64 v[97:98], v[52:53], s[16:17]
	v_add_f64 v[74:75], v[74:75], v[82:83]
	v_add_f64 v[82:83], v[123:124], v[89:90]
	;; [unrolled: 1-line block ×3, first 2 shown]
	v_fma_f64 v[91:92], v[121:122], s[28:29], -v[115:116]
	v_fma_f64 v[115:116], v[64:65], s[38:39], v[119:120]
	v_fma_f64 v[119:120], v[121:122], s[16:17], v[125:126]
	v_mul_f64 v[123:124], v[117:118], s[20:21]
	v_add_f64 v[86:87], v[127:128], v[86:87]
	v_fma_f64 v[127:128], v[64:65], s[6:7], v[97:98]
	v_mul_f64 v[129:130], v[52:53], s[18:19]
	v_fma_f64 v[97:98], v[64:65], s[34:35], v[97:98]
	v_add_f64 v[84:85], v[91:92], v[84:85]
	v_add_f64 v[91:92], v[115:116], v[93:94]
	;; [unrolled: 1-line block ×3, first 2 shown]
	v_fma_f64 v[103:104], v[121:122], s[18:19], v[123:124]
	v_mul_f64 v[52:53], v[52:53], s[24:25]
	v_fma_f64 v[125:126], v[121:122], s[16:17], -v[125:126]
	v_fma_f64 v[115:116], v[64:65], s[36:37], v[129:130]
	v_add_f64 v[95:96], v[97:98], v[95:96]
	v_mul_f64 v[97:98], v[117:118], s[22:23]
	v_fma_f64 v[117:118], v[121:122], s[18:19], -v[123:124]
	v_add_f64 v[60:61], v[135:136], v[60:61]
	v_add_f64 v[103:104], v[103:104], v[111:112]
	v_add_f64 v[111:112], v[109:110], -v[56:57]
	v_add_f64 v[56:57], v[109:110], v[56:57]
	v_add_f64 v[113:114], v[115:116], v[113:114]
	v_fma_f64 v[109:110], v[64:65], s[20:21], v[129:130]
	v_fma_f64 v[115:116], v[121:122], s[24:25], v[97:98]
	v_add_f64 v[68:69], v[117:118], v[68:69]
	v_add_f64 v[117:118], v[105:106], v[66:67]
	v_add_f64 v[66:67], v[105:106], -v[66:67]
	v_mul_f64 v[123:124], v[111:112], s[22:23]
	v_mul_f64 v[105:106], v[56:57], s[24:25]
	v_fma_f64 v[119:120], v[64:65], s[8:9], v[52:53]
	v_fma_f64 v[97:98], v[121:122], s[24:25], -v[97:98]
	v_add_f64 v[99:100], v[115:116], v[99:100]
	v_fma_f64 v[52:53], v[64:65], s[22:23], v[52:53]
	v_mul_f64 v[121:122], v[56:57], s[14:15]
	v_add_f64 v[76:77], v[109:110], v[76:77]
	v_fma_f64 v[64:65], v[117:118], s[24:25], v[123:124]
	v_fma_f64 v[115:116], v[66:67], s[8:9], v[105:106]
	;; [unrolled: 1-line block ×3, first 2 shown]
	v_add_f64 v[70:71], v[119:120], v[70:71]
	v_mul_f64 v[109:110], v[111:112], s[30:31]
	v_fma_f64 v[119:120], v[117:118], s[24:25], -v[123:124]
	v_add_f64 v[72:73], v[97:98], v[72:73]
	v_add_f64 v[52:53], v[52:53], v[54:55]
	;; [unrolled: 1-line block ×5, first 2 shown]
	v_fma_f64 v[86:87], v[66:67], s[12:13], v[121:122]
	v_mul_f64 v[97:98], v[111:112], s[20:21]
	v_mul_f64 v[105:106], v[56:57], s[18:19]
	v_add_f64 v[107:108], v[127:128], v[107:108]
	v_fma_f64 v[64:65], v[117:118], s[14:15], v[109:110]
	v_add_f64 v[78:79], v[119:120], v[78:79]
	v_mul_f64 v[115:116], v[56:57], s[28:29]
	v_fma_f64 v[119:120], v[66:67], s[30:31], v[121:122]
	v_add_f64 v[86:87], v[86:87], v[89:90]
	v_fma_f64 v[89:90], v[117:118], s[18:19], v[97:98]
	v_fma_f64 v[121:122], v[66:67], s[36:37], v[105:106]
	v_add_f64 v[60:61], v[125:126], v[60:61]
	v_fma_f64 v[109:110], v[117:118], s[14:15], -v[109:110]
	v_add_f64 v[64:65], v[64:65], v[82:83]
	v_mul_f64 v[82:83], v[111:112], s[26:27]
	v_fma_f64 v[97:98], v[117:118], s[18:19], -v[97:98]
	v_fma_f64 v[105:106], v[66:67], s[20:21], v[105:106]
	v_fma_f64 v[125:126], v[66:67], s[38:39], v[115:116]
	v_add_f64 v[89:90], v[89:90], v[93:94]
	v_add_f64 v[93:94], v[121:122], v[107:108]
	v_add_f64 v[107:108], v[62:63], -v[58:59]
	v_add_f64 v[84:85], v[109:110], v[84:85]
	v_fma_f64 v[123:124], v[117:118], s[28:29], v[82:83]
	v_add_f64 v[97:98], v[97:98], v[60:61]
	v_add_f64 v[95:96], v[105:106], v[95:96]
	;; [unrolled: 1-line block ×4, first 2 shown]
	v_mul_f64 v[58:59], v[111:112], s[34:35]
	v_mul_f64 v[56:57], v[56:57], s[16:17]
	v_fma_f64 v[60:61], v[117:118], s[28:29], -v[82:83]
	v_add_f64 v[82:83], v[48:49], v[50:51]
	v_mul_f64 v[113:114], v[107:108], s[26:27]
	v_add_f64 v[91:92], v[119:120], v[91:92]
	v_fma_f64 v[62:63], v[66:67], s[26:27], v[115:116]
	v_add_f64 v[111:112], v[48:49], -v[50:51]
	v_mul_f64 v[115:116], v[109:110], s[28:29]
	v_fma_f64 v[48:49], v[117:118], s[16:17], v[58:59]
	v_fma_f64 v[50:51], v[66:67], s[6:7], v[56:57]
	v_add_f64 v[119:120], v[60:61], v[68:69]
	v_fma_f64 v[56:57], v[66:67], s[34:35], v[56:57]
	v_fma_f64 v[60:61], v[82:83], s[28:29], v[113:114]
	v_mul_f64 v[66:67], v[107:108], s[36:37]
	v_add_f64 v[121:122], v[62:63], v[76:77]
	v_fma_f64 v[58:59], v[117:118], s[16:17], -v[58:59]
	v_fma_f64 v[62:63], v[111:112], s[38:39], v[115:116]
	v_add_f64 v[99:100], v[48:49], v[99:100]
	v_add_f64 v[117:118], v[50:51], v[70:71]
	v_mul_f64 v[68:69], v[109:110], s[18:19]
	v_add_f64 v[125:126], v[56:57], v[52:53]
	v_add_f64 v[48:49], v[60:61], v[54:55]
	v_fma_f64 v[54:55], v[111:112], s[26:27], v[115:116]
	v_fma_f64 v[56:57], v[82:83], s[18:19], v[66:67]
	v_mul_f64 v[70:71], v[107:108], s[22:23]
	v_fma_f64 v[60:61], v[82:83], s[18:19], -v[66:67]
	v_mul_f64 v[66:67], v[109:110], s[24:25]
	v_fma_f64 v[52:53], v[82:83], s[28:29], -v[113:114]
	v_add_f64 v[103:104], v[123:124], v[103:104]
	v_add_f64 v[123:124], v[58:59], v[72:73]
	;; [unrolled: 1-line block ×3, first 2 shown]
	v_fma_f64 v[58:59], v[111:112], s[20:21], v[68:69]
	v_fma_f64 v[62:63], v[111:112], s[36:37], v[68:69]
	v_add_f64 v[54:55], v[54:55], v[74:75]
	v_add_f64 v[56:57], v[56:57], v[64:65]
	v_fma_f64 v[64:65], v[82:83], s[24:25], v[70:71]
	v_fma_f64 v[68:69], v[111:112], s[8:9], v[66:67]
	v_fma_f64 v[70:71], v[82:83], s[24:25], -v[70:71]
	v_fma_f64 v[72:73], v[111:112], s[22:23], v[66:67]
	v_mul_f64 v[74:75], v[107:108], s[34:35]
	v_mul_f64 v[76:77], v[109:110], s[16:17]
	v_add_f64 v[52:53], v[52:53], v[78:79]
	v_mul_f64 v[78:79], v[107:108], s[12:13]
	v_mul_f64 v[80:81], v[109:110], s[14:15]
	v_add_f64 v[60:61], v[60:61], v[84:85]
	v_add_f64 v[66:67], v[68:69], v[93:94]
	;; [unrolled: 1-line block ×4, first 2 shown]
	v_fma_f64 v[72:73], v[82:83], s[16:17], v[74:75]
	v_fma_f64 v[84:85], v[111:112], s[6:7], v[76:77]
	v_add_f64 v[62:63], v[62:63], v[91:92]
	v_add_f64 v[64:65], v[64:65], v[89:90]
	v_fma_f64 v[89:90], v[82:83], s[14:15], v[78:79]
	v_fma_f64 v[91:92], v[111:112], s[30:31], v[80:81]
	v_add_f64 v[58:59], v[58:59], v[86:87]
	v_fma_f64 v[86:87], v[82:83], s[16:17], -v[74:75]
	v_fma_f64 v[78:79], v[82:83], s[14:15], -v[78:79]
	v_fma_f64 v[93:94], v[111:112], s[12:13], v[80:81]
	v_fma_f64 v[95:96], v[111:112], s[34:35], v[76:77]
	v_add_f64 v[72:73], v[72:73], v[103:104]
	v_add_f64 v[74:75], v[84:85], v[105:106]
	;; [unrolled: 1-line block ×8, first 2 shown]
	ds_write_b128 v102, v[44:47]
	ds_write_b128 v102, v[48:51] offset:176
	ds_write_b128 v102, v[56:59] offset:352
	;; [unrolled: 1-line block ×10, first 2 shown]
	s_waitcnt lgkmcnt(0)
	s_barrier
	ds_read_b128 v[44:47], v102
	ds_read_b128 v[48:51], v102 offset:176
	v_mad_u64_u32 v[52:53], s[6:7], s2, v88, 0
	s_waitcnt lgkmcnt(1)
	v_mul_f64 v[54:55], v[42:43], v[46:47]
	v_mul_f64 v[42:43], v[42:43], v[44:45]
	v_mad_u64_u32 v[56:57], s[2:3], s3, v88, v[53:54]
	v_mad_u64_u32 v[57:58], s[2:3], s0, v101, 0
	v_fma_f64 v[44:45], v[40:41], v[44:45], v[54:55]
	v_fma_f64 v[42:43], v[40:41], v[46:47], -v[42:43]
	v_mov_b32_e32 v40, v58
	v_mad_u64_u32 v[46:47], s[2:3], s1, v101, v[40:41]
	s_mov_b32 s2, 0x6be69c90
	s_mov_b32 s3, 0x3f80ecf5
	v_mov_b32_e32 v58, v46
	s_waitcnt lgkmcnt(0)
	v_mul_f64 v[46:47], v[26:27], v[50:51]
	v_mul_f64 v[26:27], v[26:27], v[48:49]
	v_mov_b32_e32 v53, v56
	v_mul_f64 v[40:41], v[44:45], s[2:3]
	v_mul_f64 v[42:43], v[42:43], s[2:3]
	v_lshlrev_b64 v[44:45], 4, v[52:53]
	v_mov_b32_e32 v52, s5
	v_add_co_u32_e32 v53, vcc, s4, v44
	v_fma_f64 v[46:47], v[24:25], v[48:49], v[46:47]
	v_fma_f64 v[48:49], v[24:25], v[50:51], -v[26:27]
	ds_read_b128 v[24:27], v102 offset:352
	v_addc_co_u32_e32 v52, vcc, v52, v45, vcc
	v_lshlrev_b64 v[44:45], 4, v[57:58]
	s_mulk_i32 s1, 0xb0
	v_add_co_u32_e32 v50, vcc, v53, v44
	v_addc_co_u32_e32 v51, vcc, v52, v45, vcc
	global_store_dwordx4 v[50:51], v[40:43], off
	s_mul_hi_u32 s4, s0, 0xb0
	v_mul_f64 v[40:41], v[46:47], s[2:3]
	ds_read_b128 v[44:47], v102 offset:528
	s_waitcnt lgkmcnt(1)
	v_mul_f64 v[52:53], v[34:35], v[26:27]
	v_mul_f64 v[34:35], v[34:35], v[24:25]
	;; [unrolled: 1-line block ×3, first 2 shown]
	s_add_i32 s1, s4, s1
	s_waitcnt lgkmcnt(0)
	v_mul_f64 v[48:49], v[14:15], v[46:47]
	v_mul_f64 v[14:15], v[14:15], v[44:45]
	s_mulk_i32 s0, 0xb0
	v_mov_b32_e32 v54, s1
	v_fma_f64 v[24:25], v[32:33], v[24:25], v[52:53]
	v_fma_f64 v[26:27], v[32:33], v[26:27], -v[34:35]
	ds_read_b128 v[32:35], v102 offset:704
	v_add_co_u32_e32 v50, vcc, s0, v50
	v_addc_co_u32_e32 v51, vcc, v51, v54, vcc
	global_store_dwordx4 v[50:51], v[40:43], off
	v_mul_f64 v[24:25], v[24:25], s[2:3]
	v_mul_f64 v[26:27], v[26:27], s[2:3]
	v_fma_f64 v[40:41], v[12:13], v[44:45], v[48:49]
	v_fma_f64 v[42:43], v[12:13], v[46:47], -v[14:15]
	ds_read_b128 v[12:15], v102 offset:880
	s_waitcnt lgkmcnt(1)
	v_mul_f64 v[44:45], v[38:39], v[34:35]
	v_mul_f64 v[38:39], v[38:39], v[32:33]
	v_mov_b32_e32 v52, s1
	v_add_co_u32_e32 v46, vcc, s0, v50
	v_addc_co_u32_e32 v47, vcc, v51, v52, vcc
	global_store_dwordx4 v[46:47], v[24:27], off
	v_fma_f64 v[32:33], v[36:37], v[32:33], v[44:45]
	v_mul_f64 v[24:25], v[40:41], s[2:3]
	v_mul_f64 v[26:27], v[42:43], s[2:3]
	v_fma_f64 v[34:35], v[36:37], v[34:35], -v[38:39]
	s_waitcnt lgkmcnt(0)
	v_mul_f64 v[36:37], v[10:11], v[14:15]
	v_mul_f64 v[10:11], v[10:11], v[12:13]
	v_mov_b32_e32 v40, s1
	v_add_co_u32_e32 v38, vcc, s0, v46
	v_addc_co_u32_e32 v39, vcc, v47, v40, vcc
	global_store_dwordx4 v[38:39], v[24:27], off
	v_fma_f64 v[12:13], v[8:9], v[12:13], v[36:37]
	v_mul_f64 v[24:25], v[32:33], s[2:3]
	v_mul_f64 v[26:27], v[34:35], s[2:3]
	ds_read_b128 v[32:35], v102 offset:1056
	v_fma_f64 v[14:15], v[8:9], v[14:15], -v[10:11]
	ds_read_b128 v[8:11], v102 offset:1232
	v_add_co_u32_e32 v38, vcc, s0, v38
	s_waitcnt lgkmcnt(1)
	v_mul_f64 v[36:37], v[30:31], v[34:35]
	v_mul_f64 v[30:31], v[30:31], v[32:33]
	v_addc_co_u32_e32 v39, vcc, v39, v40, vcc
	global_store_dwordx4 v[38:39], v[24:27], off
	v_mul_f64 v[12:13], v[12:13], s[2:3]
	v_mul_f64 v[14:15], v[14:15], s[2:3]
	v_fma_f64 v[24:25], v[28:29], v[32:33], v[36:37]
	v_fma_f64 v[26:27], v[28:29], v[34:35], -v[30:31]
	s_waitcnt lgkmcnt(0)
	v_mul_f64 v[28:29], v[6:7], v[10:11]
	v_mul_f64 v[6:7], v[6:7], v[8:9]
	v_add_co_u32_e32 v30, vcc, s0, v38
	v_addc_co_u32_e32 v31, vcc, v39, v40, vcc
	global_store_dwordx4 v[30:31], v[12:15], off
	v_mov_b32_e32 v32, s1
	v_mul_f64 v[12:13], v[24:25], s[2:3]
	v_mul_f64 v[14:15], v[26:27], s[2:3]
	ds_read_b128 v[24:27], v102 offset:1408
	v_fma_f64 v[8:9], v[4:5], v[8:9], v[28:29]
	v_fma_f64 v[10:11], v[4:5], v[10:11], -v[6:7]
	ds_read_b128 v[4:7], v102 offset:1584
	v_add_co_u32_e32 v30, vcc, s0, v30
	s_waitcnt lgkmcnt(1)
	v_mul_f64 v[28:29], v[22:23], v[26:27]
	v_mul_f64 v[22:23], v[22:23], v[24:25]
	v_addc_co_u32_e32 v31, vcc, v31, v32, vcc
	global_store_dwordx4 v[30:31], v[12:15], off
	ds_read_b128 v[12:15], v102 offset:1760
	v_mul_f64 v[8:9], v[8:9], s[2:3]
	v_mul_f64 v[10:11], v[10:11], s[2:3]
	v_fma_f64 v[24:25], v[20:21], v[24:25], v[28:29]
	v_fma_f64 v[20:21], v[20:21], v[26:27], -v[22:23]
	s_waitcnt lgkmcnt(1)
	v_mul_f64 v[26:27], v[2:3], v[6:7]
	v_mul_f64 v[2:3], v[2:3], v[4:5]
	s_waitcnt lgkmcnt(0)
	v_mul_f64 v[28:29], v[18:19], v[14:15]
	v_mul_f64 v[18:19], v[18:19], v[12:13]
	v_add_co_u32_e32 v22, vcc, s0, v30
	v_addc_co_u32_e32 v23, vcc, v31, v32, vcc
	v_fma_f64 v[4:5], v[0:1], v[4:5], v[26:27]
	v_fma_f64 v[2:3], v[0:1], v[6:7], -v[2:3]
	v_fma_f64 v[6:7], v[16:17], v[12:13], v[28:29]
	v_fma_f64 v[12:13], v[16:17], v[14:15], -v[18:19]
	global_store_dwordx4 v[22:23], v[8:11], off
	v_add_co_u32_e32 v14, vcc, s0, v22
	v_mul_f64 v[8:9], v[24:25], s[2:3]
	v_mul_f64 v[10:11], v[20:21], s[2:3]
	;; [unrolled: 1-line block ×6, first 2 shown]
	v_mov_b32_e32 v20, s1
	v_addc_co_u32_e32 v15, vcc, v23, v20, vcc
	global_store_dwordx4 v[14:15], v[8:11], off
	s_nop 0
	v_mov_b32_e32 v9, s1
	v_add_co_u32_e32 v8, vcc, s0, v14
	v_addc_co_u32_e32 v9, vcc, v15, v9, vcc
	global_store_dwordx4 v[8:9], v[0:3], off
	s_nop 0
	v_mov_b32_e32 v1, s1
	v_add_co_u32_e32 v0, vcc, s0, v8
	v_addc_co_u32_e32 v1, vcc, v9, v1, vcc
	global_store_dwordx4 v[0:1], v[4:7], off
.LBB0_2:
	s_endpgm
	.section	.rodata,"a",@progbits
	.p2align	6, 0x0
	.amdhsa_kernel bluestein_single_back_len121_dim1_dp_op_CI_CI
		.amdhsa_group_segment_fixed_size 21296
		.amdhsa_private_segment_fixed_size 0
		.amdhsa_kernarg_size 104
		.amdhsa_user_sgpr_count 6
		.amdhsa_user_sgpr_private_segment_buffer 1
		.amdhsa_user_sgpr_dispatch_ptr 0
		.amdhsa_user_sgpr_queue_ptr 0
		.amdhsa_user_sgpr_kernarg_segment_ptr 1
		.amdhsa_user_sgpr_dispatch_id 0
		.amdhsa_user_sgpr_flat_scratch_init 0
		.amdhsa_user_sgpr_private_segment_size 0
		.amdhsa_uses_dynamic_stack 0
		.amdhsa_system_sgpr_private_segment_wavefront_offset 0
		.amdhsa_system_sgpr_workgroup_id_x 1
		.amdhsa_system_sgpr_workgroup_id_y 0
		.amdhsa_system_sgpr_workgroup_id_z 0
		.amdhsa_system_sgpr_workgroup_info 0
		.amdhsa_system_vgpr_workitem_id 0
		.amdhsa_next_free_vgpr 190
		.amdhsa_next_free_sgpr 42
		.amdhsa_reserve_vcc 1
		.amdhsa_reserve_flat_scratch 0
		.amdhsa_float_round_mode_32 0
		.amdhsa_float_round_mode_16_64 0
		.amdhsa_float_denorm_mode_32 3
		.amdhsa_float_denorm_mode_16_64 3
		.amdhsa_dx10_clamp 1
		.amdhsa_ieee_mode 1
		.amdhsa_fp16_overflow 0
		.amdhsa_exception_fp_ieee_invalid_op 0
		.amdhsa_exception_fp_denorm_src 0
		.amdhsa_exception_fp_ieee_div_zero 0
		.amdhsa_exception_fp_ieee_overflow 0
		.amdhsa_exception_fp_ieee_underflow 0
		.amdhsa_exception_fp_ieee_inexact 0
		.amdhsa_exception_int_div_zero 0
	.end_amdhsa_kernel
	.text
.Lfunc_end0:
	.size	bluestein_single_back_len121_dim1_dp_op_CI_CI, .Lfunc_end0-bluestein_single_back_len121_dim1_dp_op_CI_CI
                                        ; -- End function
	.section	.AMDGPU.csdata,"",@progbits
; Kernel info:
; codeLenInByte = 13780
; NumSgprs: 46
; NumVgprs: 190
; ScratchSize: 0
; MemoryBound: 0
; FloatMode: 240
; IeeeMode: 1
; LDSByteSize: 21296 bytes/workgroup (compile time only)
; SGPRBlocks: 5
; VGPRBlocks: 47
; NumSGPRsForWavesPerEU: 46
; NumVGPRsForWavesPerEU: 190
; Occupancy: 1
; WaveLimiterHint : 1
; COMPUTE_PGM_RSRC2:SCRATCH_EN: 0
; COMPUTE_PGM_RSRC2:USER_SGPR: 6
; COMPUTE_PGM_RSRC2:TRAP_HANDLER: 0
; COMPUTE_PGM_RSRC2:TGID_X_EN: 1
; COMPUTE_PGM_RSRC2:TGID_Y_EN: 0
; COMPUTE_PGM_RSRC2:TGID_Z_EN: 0
; COMPUTE_PGM_RSRC2:TIDIG_COMP_CNT: 0
	.type	__hip_cuid_8fa8519ef8766ab7,@object ; @__hip_cuid_8fa8519ef8766ab7
	.section	.bss,"aw",@nobits
	.globl	__hip_cuid_8fa8519ef8766ab7
__hip_cuid_8fa8519ef8766ab7:
	.byte	0                               ; 0x0
	.size	__hip_cuid_8fa8519ef8766ab7, 1

	.ident	"AMD clang version 19.0.0git (https://github.com/RadeonOpenCompute/llvm-project roc-6.4.0 25133 c7fe45cf4b819c5991fe208aaa96edf142730f1d)"
	.section	".note.GNU-stack","",@progbits
	.addrsig
	.addrsig_sym __hip_cuid_8fa8519ef8766ab7
	.amdgpu_metadata
---
amdhsa.kernels:
  - .args:
      - .actual_access:  read_only
        .address_space:  global
        .offset:         0
        .size:           8
        .value_kind:     global_buffer
      - .actual_access:  read_only
        .address_space:  global
        .offset:         8
        .size:           8
        .value_kind:     global_buffer
      - .actual_access:  read_only
        .address_space:  global
        .offset:         16
        .size:           8
        .value_kind:     global_buffer
      - .actual_access:  read_only
        .address_space:  global
        .offset:         24
        .size:           8
        .value_kind:     global_buffer
      - .actual_access:  read_only
        .address_space:  global
        .offset:         32
        .size:           8
        .value_kind:     global_buffer
      - .offset:         40
        .size:           8
        .value_kind:     by_value
      - .address_space:  global
        .offset:         48
        .size:           8
        .value_kind:     global_buffer
      - .address_space:  global
        .offset:         56
        .size:           8
        .value_kind:     global_buffer
      - .address_space:  global
        .offset:         64
        .size:           8
        .value_kind:     global_buffer
      - .address_space:  global
        .offset:         72
        .size:           8
        .value_kind:     global_buffer
      - .offset:         80
        .size:           4
        .value_kind:     by_value
      - .address_space:  global
        .offset:         88
        .size:           8
        .value_kind:     global_buffer
      - .address_space:  global
        .offset:         96
        .size:           8
        .value_kind:     global_buffer
    .group_segment_fixed_size: 21296
    .kernarg_segment_align: 8
    .kernarg_segment_size: 104
    .language:       OpenCL C
    .language_version:
      - 2
      - 0
    .max_flat_workgroup_size: 121
    .name:           bluestein_single_back_len121_dim1_dp_op_CI_CI
    .private_segment_fixed_size: 0
    .sgpr_count:     46
    .sgpr_spill_count: 0
    .symbol:         bluestein_single_back_len121_dim1_dp_op_CI_CI.kd
    .uniform_work_group_size: 1
    .uses_dynamic_stack: false
    .vgpr_count:     190
    .vgpr_spill_count: 0
    .wavefront_size: 64
amdhsa.target:   amdgcn-amd-amdhsa--gfx906
amdhsa.version:
  - 1
  - 2
...

	.end_amdgpu_metadata
